;; amdgpu-corpus repo=ROCm/aiter kind=harvested arch=n/a opt=n/a

/root/src/amdgpu-assembly/repos/ROCm__aiter/hsa/gfx950/fmoe/silu/fmoe_fp16_pertokenFp8_g1u1_vs_multix_silu_1tg_32x256.co:	file format elf64-amdgpu

Disassembly of section .text:

0000000000002e00 <_ZN5aiter52fmoe_fp16_pertokenFp8_g1u1_vs_multix_silu_1tg_32x256E>:
	s_and_b32 s1, s1, 0xffff                                   // 000000002E00: 8601FF01 0000FFFF
	s_load_dwordx2 s[8:9], s[0:1], 0x0                         // 000000002E08: C0060200 00000000
	s_load_dwordx2 s[20:21], s[0:1], 0x10                      // 000000002E10: C0060500 00000010
	s_load_dwordx2 s[24:25], s[0:1], 0x20                      // 000000002E18: C0060600 00000020
	s_load_dwordx2 s[50:51], s[0:1], 0x30                      // 000000002E20: C0060C80 00000030
	s_load_dwordx2 s[12:13], s[0:1], 0x40                      // 000000002E28: C0060300 00000040
	s_load_dwordx2 s[28:29], s[0:1], 0x50                      // 000000002E30: C0060700 00000050
	s_load_dwordx2 s[32:33], s[0:1], 0x60                      // 000000002E38: C0060800 00000060
	s_load_dwordx2 s[16:17], s[0:1], 0x70                      // 000000002E40: C0060400 00000070
	s_load_dwordx2 s[36:37], s[0:1], 0x80                      // 000000002E48: C0060900 00000080
	s_load_dwordx2 s[44:45], s[0:1], 0x90                      // 000000002E50: C0060B00 00000090
	s_load_dwordx2 s[40:41], s[0:1], 0xa0                      // 000000002E58: C0060A00 000000A0
	s_load_dwordx2 s[46:47], s[0:1], 0xb0                      // 000000002E60: C0060B80 000000B0
	s_load_dword s64, s[0:1], 0xc0                             // 000000002E68: C0021000 000000C0
	s_load_dword s65, s[0:1], 0xd0                             // 000000002E70: C0021040 000000D0
	s_load_dword s66, s[0:1], 0xe0                             // 000000002E78: C0021080 000000E0
	s_load_dword s67, s[0:1], 0xf0                             // 000000002E80: C00210C0 000000F0
	s_load_dword s68, s[0:1], 0x100                            // 000000002E88: C0021100 00000100
	s_load_dword s69, s[0:1], 0x110                            // 000000002E90: C0021140 00000110
	s_load_dword s70, s[0:1], 0x120                            // 000000002E98: C0021180 00000120
	s_load_dword s71, s[0:1], 0x130                            // 000000002EA0: C00211C0 00000130
	s_load_dword s72, s[0:1], 0x140                            // 000000002EA8: C0021200 00000140
	s_load_dword s73, s[0:1], 0x150                            // 000000002EB0: C0021240 00000150
	s_load_dword s74, s[0:1], 0x160                            // 000000002EB8: C0021280 00000160
	s_load_dword s75, s[0:1], 0x170                            // 000000002EC0: C00212C0 00000170
	s_load_dword s76, s[0:1], 0x180                            // 000000002EC8: C0021300 00000180
	s_load_dword s63, s[0:1], 0x190                            // 000000002ED0: C0020FC0 00000190
	v_lshrrev_b32_e32 v1, 10, v0                               // 000000002ED8: 2002008A
	v_lshrrev_b32_e32 v2, 10, v1                               // 000000002EDC: 2004028A
	v_and_b32_e32 v2, 0x3ff, v2                                // 000000002EE0: 260404FF 000003FF
	v_and_b32_e32 v1, 0x3ff, v1                                // 000000002EE8: 260202FF 000003FF
	v_and_b32_e32 v0, 0x3ff, v0                                // 000000002EF0: 260000FF 000003FF
	v_lshrrev_b32_e32 v3, 6, v0                                // 000000002EF8: 20060086
	v_and_b32_e32 v0, 63, v0                                   // 000000002EFC: 260000BF
	s_mov_b32 s2, s2                                           // 000000002F00: BE820002
	s_mov_b32 s3, s3                                           // 000000002F04: BE830003
	s_mov_b32 s4, s4                                           // 000000002F08: BE840004
	v_readfirstlane_b32 s7, v3                                 // 000000002F0C: 7E0E0503
	s_waitcnt lgkmcnt(0)                                       // 000000002F10: BF8CC07F
	s_and_b32 s51, s51, 0xffff                                 // 000000002F14: 8633FF33 0000FFFF
	s_load_dword s50, s[50:51], 0x0                            // 000000002F1C: C0020C99 00000000
	s_and_b32 s45, s45, 0xffff                                 // 000000002F24: 862DFF2D 0000FFFF
	s_and_b32 s47, s47, 0xffff                                 // 000000002F2C: 862FFF2F 0000FFFF
	s_and_b32 s9, s9, 0xffff                                   // 000000002F34: 8609FF09 0000FFFF
	s_mul_i32 s60, s66, s68                                    // 000000002F3C: 923C4442
	s_mul_i32 s60, s63, s60                                    // 000000002F40: 923C3C3F
	s_mul_i32 s61, s66, 4                                      // 000000002F44: 923D8442
	s_mul_i32 s61, s63, s61                                    // 000000002F48: 923D3D3F
	s_mov_b32 s22, s60                                         // 000000002F4C: BE96003C
	s_mov_b32 s26, -16                                         // 000000002F50: BE9A00D0
	s_mov_b32 s14, -16                                         // 000000002F54: BE8E00D0
	s_mov_b32 s42, -16                                         // 000000002F58: BEAA00D0
	s_mov_b32 s30, s61                                         // 000000002F5C: BE9E003D
	s_mov_b32 s34, 0x400                                       // 000000002F60: BEA200FF 00000400
	s_mov_b32 s38, 0x400                                       // 000000002F68: BEA600FF 00000400
	s_mov_b32 s18, -16                                         // 000000002F70: BE9200D0
	s_mov_b32 s23, 0x20000                                     // 000000002F74: BE9700FF 00020000
	s_mov_b32 s27, 0x20000                                     // 000000002F7C: BE9B00FF 00020000
	s_mov_b32 s15, 0x20000                                     // 000000002F84: BE8F00FF 00020000
	s_mov_b32 s43, 0x20000                                     // 000000002F8C: BEAB00FF 00020000
	s_mov_b32 s31, 0x20000                                     // 000000002F94: BE9F00FF 00020000
	s_mov_b32 s35, 0x20000                                     // 000000002F9C: BEA300FF 00020000
	s_mov_b32 s39, 0x20000                                     // 000000002FA4: BEA700FF 00020000
	s_mov_b32 s19, 0x20000                                     // 000000002FAC: BE9300FF 00020000
	s_and_b32 s21, s21, 0xffff                                 // 000000002FB4: 8615FF15 0000FFFF
	s_and_b32 s25, s25, 0xffff                                 // 000000002FBC: 8619FF19 0000FFFF
	s_and_b32 s13, s13, 0xffff                                 // 000000002FC4: 860DFF0D 0000FFFF
	s_and_b32 s41, s41, 0xffff                                 // 000000002FCC: 8629FF29 0000FFFF
	s_and_b32 s29, s29, 0xffff                                 // 000000002FD4: 861DFF1D 0000FFFF
	s_and_b32 s33, s33, 0xffff                                 // 000000002FDC: 8621FF21 0000FFFF
	s_and_b32 s37, s37, 0xffff                                 // 000000002FE4: 8625FF25 0000FFFF
	s_and_b32 s17, s17, 0xffff                                 // 000000002FEC: 8611FF11 0000FFFF
	s_or_b32 s21, s21, 0x40000                                 // 000000002FF4: 8715FF15 00040000
	s_or_b32 s25, s25, 0x40000                                 // 000000002FFC: 8719FF19 00040000
	s_or_b32 s13, s13, 0x40000                                 // 000000003004: 870DFF0D 00040000
	s_or_b32 s41, s41, 0x40000                                 // 00000000300C: 8729FF29 00040000
	s_or_b32 s29, s29, 0x40000                                 // 000000003014: 871DFF1D 00040000
	s_or_b32 s33, s33, 0x40000                                 // 00000000301C: 8721FF21 00040000
	s_or_b32 s37, s37, 0x40000                                 // 000000003024: 8725FF25 00040000
	s_or_b32 s17, s17, 0x40000                                 // 00000000302C: 8711FF11 00040000
	v_accvgpr_write_b32 a127, 0                                // 000000003034: D3D9407F 18000080
	v_mov_b32_e32 v223, 0                                      // 00000000303C: 7FBE0280
	s_waitcnt lgkmcnt(0)                                       // 000000003040: BF8CC07F
	s_mul_i32 s60, s3, 32                                      // 000000003044: 923CA003
	s_cmp_lt_i32 s60, s50                                      // 000000003048: BF04323C
	s_cbranch_scc0 label_1695                                  // 00000000304C: BF841601
	s_mov_b32 s80, 0                                           // 000000003050: BED00080
	s_mov_b32 s81, s64                                         // 000000003054: BED10040
	s_mul_i32 s60, s3, 4                                       // 000000003058: 923C8403
	s_add_u32 s46, s60, s46                                    // 00000000305C: 802E2E3C
	s_addc_u32 s47, 0, s47                                     // 000000003060: 822F2F80
	s_load_dword s5, s[46:47], 0x0                             // 000000003064: C0020157 00000000
	s_mul_i32 s60, s3, 32                                      // 00000000306C: 923CA003
	s_mul_i32 s60, 4, s60                                      // 000000003070: 923C3C84
	v_and_b32_e32 v46, 15, v0                                  // 000000003074: 265C008F
	v_lshlrev_b32_e32 v46, 2, v46                              // 000000003078: 245C5C82
	v_add_u32_e32 v46, s60, v46                                // 00000000307C: 685C5C3C
	v_mov_b32_e32 v47, 0                                       // 000000003080: 7E5E0280
	global_load_dword v6, v46, s[44:45]                        // 000000003084: DC508000 062C002E
	v_add_u32_e32 v46, 64, v46                                 // 00000000308C: 685C5CC0
	global_load_dword v7, v46, s[44:45]                        // 000000003090: DC508000 072C002E
	s_mul_i32 s60, s3, 32                                      // 000000003098: 923CA003
	s_add_u32 s60, s7, s60                                     // 00000000309C: 803C3C07
	s_mul_i32 s60, 4, s60                                      // 0000000030A0: 923C3C84
	s_add_u32 s44, s60, s44                                    // 0000000030A4: 802C2C3C
	s_addc_u32 s45, 0, s45                                     // 0000000030A8: 822D2D80
	s_load_dword s82, s[44:45], 0x0                            // 0000000030AC: C0021496 00000000
	s_load_dword s83, s[44:45], 0x10                           // 0000000030B4: C00214D6 00000010
	s_load_dword s84, s[44:45], 0x20                           // 0000000030BC: C0021516 00000020
	s_load_dword s85, s[44:45], 0x30                           // 0000000030C4: C0021556 00000030
	s_load_dword s86, s[44:45], 0x40                           // 0000000030CC: C0021596 00000040
	s_load_dword s87, s[44:45], 0x50                           // 0000000030D4: C00215D6 00000050
	s_load_dword s88, s[44:45], 0x60                           // 0000000030DC: C0021616 00000060
	s_load_dword s89, s[44:45], 0x70                           // 0000000030E4: C0021656 00000070
	s_waitcnt lgkmcnt(0)                                       // 0000000030EC: BF8CC07F
	v_lshlrev_b32_e32 v46, 2, v0                               // 0000000030F0: 245C0082
	s_lshr_b32 s61, s82, 24                                    // 0000000030F4: 8F3D9852
	s_mul_i32 s61, s61, s68                                    // 0000000030F8: 923D443D
	s_mul_i32 s61, s61, s66                                    // 0000000030FC: 923D423D
	s_and_b32 s82, s82, 0xffffff                               // 000000003100: 8652FF52 00FFFFFF
	s_mul_i32 s60, s82, s68                                    // 000000003108: 923C4452
	s_add_u32 s60, s61, s60                                    // 00000000310C: 803C3C3D
	v_add_u32_e64 v24, v46, s60                                // 000000003110: D1340018 0000792E
	s_lshr_b32 s61, s83, 24                                    // 000000003118: 8F3D9853
	s_mul_i32 s61, s61, s68                                    // 00000000311C: 923D443D
	s_mul_i32 s61, s61, s66                                    // 000000003120: 923D423D
	s_and_b32 s83, s83, 0xffffff                               // 000000003124: 8653FF53 00FFFFFF
	s_mul_i32 s60, s83, s68                                    // 00000000312C: 923C4453
	s_add_u32 s60, s61, s60                                    // 000000003130: 803C3C3D
	v_add_u32_e64 v25, v46, s60                                // 000000003134: D1340019 0000792E
	s_lshr_b32 s61, s84, 24                                    // 00000000313C: 8F3D9854
	s_mul_i32 s61, s61, s68                                    // 000000003140: 923D443D
	s_mul_i32 s61, s61, s66                                    // 000000003144: 923D423D
	s_and_b32 s84, s84, 0xffffff                               // 000000003148: 8654FF54 00FFFFFF
	s_mul_i32 s60, s84, s68                                    // 000000003150: 923C4454
	s_add_u32 s60, s61, s60                                    // 000000003154: 803C3C3D
	v_add_u32_e64 v26, v46, s60                                // 000000003158: D134001A 0000792E
	s_lshr_b32 s61, s85, 24                                    // 000000003160: 8F3D9855
	s_mul_i32 s61, s61, s68                                    // 000000003164: 923D443D
	s_mul_i32 s61, s61, s66                                    // 000000003168: 923D423D
	s_and_b32 s85, s85, 0xffffff                               // 00000000316C: 8655FF55 00FFFFFF
	s_mul_i32 s60, s85, s68                                    // 000000003174: 923C4455
	s_add_u32 s60, s61, s60                                    // 000000003178: 803C3C3D
	v_add_u32_e64 v27, v46, s60                                // 00000000317C: D134001B 0000792E
	s_lshr_b32 s61, s86, 24                                    // 000000003184: 8F3D9856
	s_mul_i32 s61, s61, s68                                    // 000000003188: 923D443D
	s_mul_i32 s61, s61, s66                                    // 00000000318C: 923D423D
	s_and_b32 s86, s86, 0xffffff                               // 000000003190: 8656FF56 00FFFFFF
	s_mul_i32 s60, s86, s68                                    // 000000003198: 923C4456
	s_add_u32 s60, s61, s60                                    // 00000000319C: 803C3C3D
	v_add_u32_e64 v28, v46, s60                                // 0000000031A0: D134001C 0000792E
	s_lshr_b32 s61, s87, 24                                    // 0000000031A8: 8F3D9857
	s_mul_i32 s61, s61, s68                                    // 0000000031AC: 923D443D
	s_mul_i32 s61, s61, s66                                    // 0000000031B0: 923D423D
	s_and_b32 s87, s87, 0xffffff                               // 0000000031B4: 8657FF57 00FFFFFF
	s_mul_i32 s60, s87, s68                                    // 0000000031BC: 923C4457
	s_add_u32 s60, s61, s60                                    // 0000000031C0: 803C3C3D
	v_add_u32_e64 v29, v46, s60                                // 0000000031C4: D134001D 0000792E
	s_lshr_b32 s61, s88, 24                                    // 0000000031CC: 8F3D9858
	s_mul_i32 s61, s61, s68                                    // 0000000031D0: 923D443D
	s_mul_i32 s61, s61, s66                                    // 0000000031D4: 923D423D
	s_and_b32 s88, s88, 0xffffff                               // 0000000031D8: 8658FF58 00FFFFFF
	s_mul_i32 s60, s88, s68                                    // 0000000031E0: 923C4458
	s_add_u32 s60, s61, s60                                    // 0000000031E4: 803C3C3D
	v_add_u32_e64 v30, v46, s60                                // 0000000031E8: D134001E 0000792E
	s_lshr_b32 s61, s89, 24                                    // 0000000031F0: 8F3D9859
	s_mul_i32 s61, s61, s68                                    // 0000000031F4: 923D443D
	s_mul_i32 s61, s61, s66                                    // 0000000031F8: 923D423D
	s_and_b32 s89, s89, 0xffffff                               // 0000000031FC: 8659FF59 00FFFFFF
	s_mul_i32 s60, s89, s68                                    // 000000003204: 923C4459
	s_add_u32 s60, s61, s60                                    // 000000003208: 803C3C3D
	v_add_u32_e64 v31, v46, s60                                // 00000000320C: D134001F 0000792E
	v_lshlrev_b32_e32 v46, 2, v0                               // 000000003214: 245C0082
	s_mul_i32 s60, s82, s71                                    // 000000003218: 923C4752
	v_add_u32_e64 v80, v46, s60                                // 00000000321C: D1340050 0000792E
	v_mov_b32_e32 v81, 0                                       // 000000003224: 7EA20280
	s_mul_i32 s60, s83, s71                                    // 000000003228: 923C4753
	v_add_u32_e64 v82, v46, s60                                // 00000000322C: D1340052 0000792E
	v_mov_b32_e32 v83, 0                                       // 000000003234: 7EA60280
	s_mul_i32 s60, s84, s71                                    // 000000003238: 923C4754
	v_add_u32_e64 v84, v46, s60                                // 00000000323C: D1340054 0000792E
	v_mov_b32_e32 v85, 0                                       // 000000003244: 7EAA0280
	s_mul_i32 s60, s85, s71                                    // 000000003248: 923C4755
	v_add_u32_e64 v86, v46, s60                                // 00000000324C: D1340056 0000792E
	v_mov_b32_e32 v87, 0                                       // 000000003254: 7EAE0280
	s_mul_i32 s60, s86, s71                                    // 000000003258: 923C4756
	v_add_u32_e64 v88, v46, s60                                // 00000000325C: D1340058 0000792E
	v_mov_b32_e32 v89, 0                                       // 000000003264: 7EB20280
	s_mul_i32 s60, s87, s71                                    // 000000003268: 923C4757
	v_add_u32_e64 v90, v46, s60                                // 00000000326C: D134005A 0000792E
	v_mov_b32_e32 v91, 0                                       // 000000003274: 7EB60280
	s_mul_i32 s60, s88, s71                                    // 000000003278: 923C4758
	v_add_u32_e64 v92, v46, s60                                // 00000000327C: D134005C 0000792E
	v_mov_b32_e32 v93, 0                                       // 000000003284: 7EBA0280
	s_mul_i32 s60, s89, s71                                    // 000000003288: 923C4759
	v_add_u32_e64 v94, v46, s60                                // 00000000328C: D134005E 0000792E
	v_mov_b32_e32 v95, 0                                       // 000000003294: 7EBE0280
	s_mul_i32 s60, s7, 0x820                                   // 000000003298: 923CFF07 00000820
	s_add_u32 s50, 0, s60                                      // 0000000032A0: 80323C80
	s_add_u32 s51, 0x2080, s50                                 // 0000000032A4: 803332FF 00002080
	v_lshrrev_b32_e32 v46, 4, v0                               // 0000000032AC: 205C0084
	v_lshlrev_b32_e32 v47, 2, v46                              // 0000000032B0: 245E5C82
	v_and_b32_e32 v46, 15, v0                                  // 0000000032B4: 265C008F
	v_lshrrev_b32_e32 v48, 2, v46                              // 0000000032B8: 20605C82
	v_lshlrev_b32_e32 v48, 6, v48                              // 0000000032BC: 24606086
	v_add_u32_e32 v47, v48, v47                                // 0000000032C0: 685E5F30
	v_and_b32_e32 v46, 3, v0                                   // 0000000032C4: 265C0083
	v_mul_i32_i24_e32 v48, 0x208, v46                          // 0000000032C8: 0C605CFF 00000208
	v_add_u32_e32 v47, v48, v47                                // 0000000032D0: 685E5F30
	v_lshlrev_b32_e32 v2, 2, v47                               // 0000000032D4: 24045E82
	s_mul_i32 s60, s2, 0x100                                   // 0000000032D8: 923CFF02 00000100
	s_mul_i32 s60, s60, s69                                    // 0000000032E0: 923C453C
	s_mul_i32 s61, s5, s72                                     // 0000000032E4: 923D4805
	s_add_u32 s60, s61, s60                                    // 0000000032E8: 803C3C3D
	s_add_u32 s24, s60, s24                                    // 0000000032EC: 8018183C
	s_addc_u32 s25, 0, s25                                     // 0000000032F0: 82191980
	s_mul_i32 s60, s7, 16                                      // 0000000032F4: 923C9007
	s_mul_i32 s60, s60, s69                                    // 0000000032F8: 923C453C
	v_lshlrev_b32_e32 v32, 4, v0                               // 0000000032FC: 24400084
	v_add_u32_e32 v32, s60, v32                                // 000000003300: 6840403C
	s_mul_i32 s60, 64, s69                                     // 000000003304: 923C45C0
	v_add_u32_e32 v33, s60, v32                                // 000000003308: 6842403C
	v_add_u32_e32 v34, s60, v33                                // 00000000330C: 6844423C
	v_add_u32_e32 v35, s60, v34                                // 000000003310: 6846443C
	s_mov_b32 s92, s24                                         // 000000003314: BEDC0018
	s_mov_b32 s93, s25                                         // 000000003318: BEDD0019
	s_mov_b32 s94, s26                                         // 00000000331C: BEDE001A
	s_mov_b32 s95, s27                                         // 000000003320: BEDF001B
	s_mul_i32 s60, s69, s65                                    // 000000003324: 923C4145
	s_add_u32 s92, s60, s92                                    // 000000003328: 805C5C3C
	s_addc_u32 s93, 0, s93                                     // 00000000332C: 825D5D80
	s_mul_i32 s60, s2, 0x1000                                  // 000000003330: 923CFF02 00001000
	s_mul_i32 s61, s5, s73                                     // 000000003338: 923D4905
	s_add_u32 s60, s61, s60                                    // 00000000333C: 803C3C3D
	s_add_u32 s12, s60, s12                                    // 000000003340: 800C0C3C
	s_addc_u32 s13, 0, s13                                     // 000000003344: 820D0D80
	s_mul_i32 s60, s7, 16                                      // 000000003348: 923C9007
	s_mul_i32 s60, s60, s70                                    // 00000000334C: 923C463C
	v_lshlrev_b32_e32 v36, 4, v0                               // 000000003350: 24480084
	v_add_u32_e32 v36, s60, v36                                // 000000003354: 6848483C
	s_mul_i32 s60, 64, s70                                     // 000000003358: 923C46C0
	v_add_u32_e32 v37, s60, v36                                // 00000000335C: 684A483C
	v_add_u32_e32 v38, s60, v37                                // 000000003360: 684C4A3C
	v_add_u32_e32 v39, s60, v38                                // 000000003364: 684E4C3C
	s_mul_i32 s60, s70, 0x100                                  // 000000003368: 923CFF46 00000100
	s_mov_b32 s78, 0x400                                       // 000000003370: BECE00FF 00000400
	s_mul_i32 s61, s78, 3                                      // 000000003378: 923D834E
	s_sub_u32 s56, s60, s61                                    // 00000000337C: 80B83D3C
	s_mul_i32 s60, s3, 32                                      // 000000003380: 923CA003
	s_mul_i32 s60, 4, s60                                      // 000000003384: 923C3C84
	s_add_u32 s40, s60, s40                                    // 000000003388: 8028283C
	s_addc_u32 s41, 0, s41                                     // 00000000338C: 82292980
	v_and_b32_e32 v46, 15, v0                                  // 000000003390: 265C008F
	v_lshlrev_b32_e32 v8, 2, v46                               // 000000003394: 24105C82
	v_add_u32_e32 v9, 64, v8                                   // 000000003398: 681210C0
	v_lshrrev_b32_e32 v46, 4, v0                               // 00000000339C: 205C0084
	v_lshlrev_b32_e32 v47, 2, v46                              // 0000000033A0: 245E5C82
	v_and_b32_e32 v46, 15, v0                                  // 0000000033A4: 265C008F
	v_lshrrev_b32_e32 v48, 2, v46                              // 0000000033A8: 20605C82
	v_lshlrev_b32_e32 v48, 6, v48                              // 0000000033AC: 24606086
	v_add_u32_e32 v47, v48, v47                                // 0000000033B0: 685E5F30
	v_and_b32_e32 v46, 3, v0                                   // 0000000033B4: 265C0083
	v_add_u32_e32 v47, v46, v47                                // 0000000033B8: 685E5F2E
	v_lshlrev_b32_e32 v10, 2, v47                              // 0000000033BC: 24145E82
	v_add_u32_e32 v11, 0x400, v10                              // 0000000033C0: 681614FF 00000400
	s_mul_i32 s60, s7, 16                                      // 0000000033C8: 923C9007
	s_mul_i32 s60, s60, 4                                      // 0000000033CC: 923C843C
	v_add_u32_e32 v10, s60, v10                                // 0000000033D0: 6814143C
	v_add_u32_e32 v11, s60, v11                                // 0000000033D4: 6816163C
	v_mov_b32_e32 v5, v10                                      // 0000000033D8: 7E0A030A
	s_mul_i32 s60, s2, 0x100                                   // 0000000033DC: 923CFF02 00000100
	s_mul_i32 s60, s60, 4                                      // 0000000033E4: 923C843C
	s_mul_i32 s61, s5, s74                                     // 0000000033E8: 923D4A05
	s_add_u32 s61, s61, s60                                    // 0000000033EC: 803D3C3D
	s_mul_i32 s62, s5, s76                                     // 0000000033F0: 923E4C05
	s_add_u32 s62, s62, s60                                    // 0000000033F4: 803E3C3E
	s_add_u32 s32, s61, s32                                    // 0000000033F8: 8020203D
	s_addc_u32 s33, 0, s33                                     // 0000000033FC: 82212180
	s_add_u32 s36, s62, s36                                    // 000000003400: 8024243E
	s_addc_u32 s37, 0, s37                                     // 000000003404: 82252580
	s_mul_i32 s60, s5, s75                                     // 000000003408: 923C4B05
	s_add_u32 s16, s60, s16                                    // 00000000340C: 8010103C
	s_addc_u32 s17, 0, s17                                     // 000000003410: 82111180
	s_mov_b32 s57, 0x100                                       // 000000003414: BEB900FF 00000100
	s_mov_b32 s58, 0x1000                                      // 00000000341C: BEBA00FF 00001000
	s_mov_b32 s79, 0x400                                       // 000000003424: BECF00FF 00000400
	s_mov_b32 s59, 0x200                                       // 00000000342C: BEBB00FF 00000200
	s_mov_b32 s90, s58                                         // 000000003434: BEDA003A
	s_mov_b32 s52, 0x7060302                                   // 000000003438: BEB400FF 07060302
	s_mov_b32 s53, 0x400                                       // 000000003440: BEB500FF 00000400
	s_mov_b32 s54, 0x40100                                     // 000000003448: BEB600FF 00040100
	s_mov_b32 s55, 0x4020100                                   // 000000003450: BEB700FF 04020100
	s_mov_b32 s6, 0x3fb8aa3b                                   // 000000003458: BE8600FF 3FB8AA3B
	s_mov_b32 s77, 0xbd92220c                                  // 000000003460: BECD00FF BD92220C
	s_mov_b32 m0, s50                                          // 000000003468: BEFC0032
	v_mov_b32_e32 v1, 0xbfcc4231                               // 00000000346C: 7E0202FF BFCC4231
	v_mov_b32_e32 v41, 0xffff0000                              // 000000003474: 7E5202FF FFFF0000
	v_mov_b32_e32 v42, 0x7fff0000                              // 00000000347C: 7E5402FF 7FFF0000
	v_mov_b32_e32 v43, 0x7fff                                  // 000000003484: 7E5602FF 00007FFF
	s_waitcnt vmcnt(0) expcnt(0) lgkmcnt(0)                    // 00000000348C: BF8C0000
	v_lshrrev_b32_e32 v46, 24, v6                              // 000000003490: 205C0C98
	v_mul_i32_i24_e32 v46, s66, v46                            // 000000003494: 0C5C5C42
	v_and_b32_e32 v47, 0xffffff, v6                            // 000000003498: 265E0CFF 00FFFFFF
	v_add_u32_e32 v6, v46, v47                                 // 0000000034A0: 680C5F2E
	v_lshrrev_b32_e32 v46, 24, v7                              // 0000000034A4: 205C0E98
	v_mul_i32_i24_e32 v46, s66, v46                            // 0000000034A8: 0C5C5C42
	v_and_b32_e32 v47, 0xffffff, v7                            // 0000000034AC: 265E0EFF 00FFFFFF
	v_add_u32_e32 v7, v46, v47                                 // 0000000034B4: 680E5F2E
	v_lshlrev_b32_e32 v6, 2, v6                                // 0000000034B8: 240C0C82
	v_lshlrev_b32_e32 v7, 2, v7                                // 0000000034BC: 240E0E82
	buffer_load_dword v13, v6, s[28:31], 0 offen               // 0000000034C0: E0501000 80070D06
	buffer_load_dword v14, v7, s[28:31], 0 offen               // 0000000034C8: E0501000 80070E07
	buffer_load_dword v15, v10, s[32:35], 0 offen              // 0000000034D0: E0501000 80080F0A
	buffer_load_dword v16, v11, s[32:35], 0 offen              // 0000000034D8: E0501000 8008100B
	s_mul_i32 s60, 4, s65                                      // 0000000034E0: 923C4184
	s_add_u32 s32, s60, s32                                    // 0000000034E4: 8020203C
	s_addc_u32 s33, 0, s33                                     // 0000000034E8: 82212180
	buffer_load_dword v44, v10, s[32:35], 0 offen              // 0000000034EC: E0501000 80082C0A
	buffer_load_dword v45, v11, s[32:35], 0 offen              // 0000000034F4: E0501000 80082D0B
	buffer_load_dword v16, v10, s[36:39], 0 offen              // 0000000034FC: E0501000 8009100A
	buffer_load_dword v17, v11, s[36:39], 0 offen              // 000000003504: E0501000 8009110B
	buffer_load_dword v17, v8, s[40:43], 0 offen               // 00000000350C: E0501000 800A1108
	buffer_load_dword v18, v9, s[40:43], 0 offen               // 000000003514: E0501000 800A1209
	buffer_load_dword v24, s[20:23], 0 offen lds               // 00000000351C: E0511000 80050018
	s_add_u32 m0, 0x100, s50                                   // 000000003524: 807C32FF 00000100
	buffer_load_dword v25, s[20:23], 0 offen lds               // 00000000352C: E0511000 80050019
	s_add_u32 m0, 0x200, s50                                   // 000000003534: 807C32FF 00000200
	buffer_load_dword v26, s[20:23], 0 offen lds               // 00000000353C: E0511000 8005001A
	s_add_u32 m0, 0x300, s50                                   // 000000003544: 807C32FF 00000300
	buffer_load_dword v27, s[20:23], 0 offen lds               // 00000000354C: E0511000 8005001B
	s_add_u32 m0, 0x400, s50                                   // 000000003554: 807C32FF 00000400
	buffer_load_dword v28, s[20:23], 0 offen lds               // 00000000355C: E0511000 8005001C
	s_add_u32 m0, 0x500, s50                                   // 000000003564: 807C32FF 00000500
	buffer_load_dword v29, s[20:23], 0 offen lds               // 00000000356C: E0511000 8005001D
	s_add_u32 m0, 0x600, s50                                   // 000000003574: 807C32FF 00000600
	buffer_load_dword v30, s[20:23], 0 offen lds               // 00000000357C: E0511000 8005001E
	s_add_u32 m0, 0x700, s50                                   // 000000003584: 807C32FF 00000700
	buffer_load_dword v31, s[20:23], 0 offen lds               // 00000000358C: E0511000 8005001F
	s_add_u32 m0, 0, s51                                       // 000000003594: 807C3380
	s_add_u32 s20, s57, s20                                    // 000000003598: 80141439
	s_addc_u32 s21, 0, s21                                     // 00000000359C: 82151580
	buffer_load_dwordx4 a[0:3], v32, s[24:27], 0 offen         // 0000000035A0: E05C1000 80860020
	buffer_load_dwordx4 a[4:7], v32, s[24:27], 0 offen offset:1024// 0000000035A8: E05C1400 80860420
	buffer_load_dwordx4 a[8:11], v32, s[24:27], 0 offen offset:2048// 0000000035B0: E05C1800 80860820
	buffer_load_dwordx4 a[12:15], v32, s[24:27], 0 offen offset:3072// 0000000035B8: E05C1C00 80860C20
	buffer_load_dwordx4 a[16:19], v33, s[24:27], 0 offen       // 0000000035C0: E05C1000 80861021
	buffer_load_dwordx4 a[20:23], v33, s[24:27], 0 offen offset:1024// 0000000035C8: E05C1400 80861421
	buffer_load_dwordx4 a[24:27], v33, s[24:27], 0 offen offset:2048// 0000000035D0: E05C1800 80861821
	buffer_load_dwordx4 a[28:31], v33, s[24:27], 0 offen offset:3072// 0000000035D8: E05C1C00 80861C21
	buffer_load_dwordx4 a[32:35], v34, s[24:27], 0 offen       // 0000000035E0: E05C1000 80862022
	buffer_load_dwordx4 a[36:39], v34, s[24:27], 0 offen offset:1024// 0000000035E8: E05C1400 80862422
	buffer_load_dwordx4 a[40:43], v34, s[24:27], 0 offen offset:2048// 0000000035F0: E05C1800 80862822
	buffer_load_dwordx4 a[44:47], v34, s[24:27], 0 offen offset:3072// 0000000035F8: E05C1C00 80862C22
	buffer_load_dwordx4 a[48:51], v35, s[24:27], 0 offen       // 000000003600: E05C1000 80863023
	buffer_load_dwordx4 a[52:55], v35, s[24:27], 0 offen offset:1024// 000000003608: E05C1400 80863423
	buffer_load_dwordx4 a[56:59], v35, s[24:27], 0 offen offset:2048// 000000003610: E05C1800 80863823
	buffer_load_dwordx4 a[60:63], v35, s[24:27], 0 offen offset:3072// 000000003618: E05C1C00 80863C23
	s_add_u32 s24, s58, s24                                    // 000000003620: 8018183A
	s_addc_u32 s25, 0, s25                                     // 000000003624: 82191980
	v_mov_b32_e32 v128, 0                                      // 000000003628: 7F000280
	v_mov_b32_e32 v64, 0                                       // 00000000362C: 7E800280
	v_mov_b32_e32 v129, 0                                      // 000000003630: 7F020280
	v_mov_b32_e32 v65, 0                                       // 000000003634: 7E820280
	v_mov_b32_e32 v130, 0                                      // 000000003638: 7F040280
	v_mov_b32_e32 v66, 0                                       // 00000000363C: 7E840280
	v_mov_b32_e32 v131, 0                                      // 000000003640: 7F060280
	v_mov_b32_e32 v67, 0                                       // 000000003644: 7E860280
	v_mov_b32_e32 v132, 0                                      // 000000003648: 7F080280
	v_mov_b32_e32 v68, 0                                       // 00000000364C: 7E880280
	v_mov_b32_e32 v133, 0                                      // 000000003650: 7F0A0280
	v_mov_b32_e32 v69, 0                                       // 000000003654: 7E8A0280
	v_mov_b32_e32 v134, 0                                      // 000000003658: 7F0C0280
	v_mov_b32_e32 v70, 0                                       // 00000000365C: 7E8C0280
	v_mov_b32_e32 v135, 0                                      // 000000003660: 7F0E0280
	v_mov_b32_e32 v71, 0                                       // 000000003664: 7E8E0280
	v_mov_b32_e32 v136, 0                                      // 000000003668: 7F100280
	v_mov_b32_e32 v72, 0                                       // 00000000366C: 7E900280
	v_mov_b32_e32 v137, 0                                      // 000000003670: 7F120280
	v_mov_b32_e32 v73, 0                                       // 000000003674: 7E920280
	v_mov_b32_e32 v138, 0                                      // 000000003678: 7F140280
	v_mov_b32_e32 v74, 0                                       // 00000000367C: 7E940280
	v_mov_b32_e32 v139, 0                                      // 000000003680: 7F160280
	v_mov_b32_e32 v75, 0                                       // 000000003684: 7E960280
	v_mov_b32_e32 v140, 0                                      // 000000003688: 7F180280
	v_mov_b32_e32 v76, 0                                       // 00000000368C: 7E980280
	v_mov_b32_e32 v141, 0                                      // 000000003690: 7F1A0280
	v_mov_b32_e32 v77, 0                                       // 000000003694: 7E9A0280
	v_mov_b32_e32 v142, 0                                      // 000000003698: 7F1C0280
	v_mov_b32_e32 v78, 0                                       // 00000000369C: 7E9C0280
	v_mov_b32_e32 v143, 0                                      // 0000000036A0: 7F1E0280
	v_mov_b32_e32 v79, 0                                       // 0000000036A4: 7E9E0280
	v_mov_b32_e32 v144, 0                                      // 0000000036A8: 7F200280
	v_mov_b32_e32 v80, 0                                       // 0000000036AC: 7EA00280
	v_mov_b32_e32 v145, 0                                      // 0000000036B0: 7F220280
	v_mov_b32_e32 v81, 0                                       // 0000000036B4: 7EA20280
	v_mov_b32_e32 v146, 0                                      // 0000000036B8: 7F240280
	v_mov_b32_e32 v82, 0                                       // 0000000036BC: 7EA40280
	v_mov_b32_e32 v147, 0                                      // 0000000036C0: 7F260280
	v_mov_b32_e32 v83, 0                                       // 0000000036C4: 7EA60280
	v_mov_b32_e32 v148, 0                                      // 0000000036C8: 7F280280
	v_mov_b32_e32 v84, 0                                       // 0000000036CC: 7EA80280
	v_mov_b32_e32 v149, 0                                      // 0000000036D0: 7F2A0280
	v_mov_b32_e32 v85, 0                                       // 0000000036D4: 7EAA0280
	v_mov_b32_e32 v150, 0                                      // 0000000036D8: 7F2C0280
	v_mov_b32_e32 v86, 0                                       // 0000000036DC: 7EAC0280
	v_mov_b32_e32 v151, 0                                      // 0000000036E0: 7F2E0280
	v_mov_b32_e32 v87, 0                                       // 0000000036E4: 7EAE0280
	v_mov_b32_e32 v152, 0                                      // 0000000036E8: 7F300280
	v_mov_b32_e32 v88, 0                                       // 0000000036EC: 7EB00280
	v_mov_b32_e32 v153, 0                                      // 0000000036F0: 7F320280
	v_mov_b32_e32 v89, 0                                       // 0000000036F4: 7EB20280
	v_mov_b32_e32 v154, 0                                      // 0000000036F8: 7F340280
	v_mov_b32_e32 v90, 0                                       // 0000000036FC: 7EB40280
	v_mov_b32_e32 v155, 0                                      // 000000003700: 7F360280
	v_mov_b32_e32 v91, 0                                       // 000000003704: 7EB60280
	v_mov_b32_e32 v156, 0                                      // 000000003708: 7F380280
	v_mov_b32_e32 v92, 0                                       // 00000000370C: 7EB80280
	v_mov_b32_e32 v157, 0                                      // 000000003710: 7F3A0280
	v_mov_b32_e32 v93, 0                                       // 000000003714: 7EBA0280
	v_mov_b32_e32 v158, 0                                      // 000000003718: 7F3C0280
	v_mov_b32_e32 v94, 0                                       // 00000000371C: 7EBC0280
	v_mov_b32_e32 v159, 0                                      // 000000003720: 7F3E0280
	v_mov_b32_e32 v95, 0                                       // 000000003724: 7EBE0280
	v_lshrrev_b32_e32 v46, 4, v0                               // 000000003728: 205C0084
	v_mul_i32_i24_e32 v3, 34, v46                              // 00000000372C: 0C065CA2
	v_and_b32_e32 v46, 15, v0                                  // 000000003730: 265C008F
	v_mul_i32_i24_e32 v47, 2, v46                              // 000000003734: 0C5E5C82
	v_add_u32_e32 v3, v47, v3                                  // 000000003738: 6806072F
	s_mul_i32 s60, s7, 0x88                                    // 00000000373C: 923CFF07 00000088
	v_add_u32_e32 v3, s60, v3                                  // 000000003744: 6806063C
	v_lshlrev_b32_e32 v3, 2, v3                                // 000000003748: 24060682
	v_lshrrev_b32_e32 v46, 1, v0                               // 00000000374C: 205C0081
	v_mul_i32_i24_e32 v4, 34, v46                              // 000000003750: 0C085CA2
	v_and_b32_e32 v47, 1, v0                                   // 000000003754: 265E0081
	v_add_u32_e32 v4, v47, v4                                  // 000000003758: 6808092F
	s_mul_i32 s60, s7, 2                                       // 00000000375C: 923C8207
	v_add_u32_e32 v4, s60, v4                                  // 000000003760: 6808083C
	v_lshlrev_b32_e32 v4, 2, v4                                // 000000003764: 24080882
	s_waitcnt vmcnt(16)                                        // 000000003768: BF8C4F70
	s_barrier                                                  // 00000000376C: BF8A0000
	ds_read_b128 v[160:163], v2                                // 000000003770: D9FE0000 A0000002
	ds_read_b128 v[164:167], v2 offset:64                      // 000000003778: D9FE0040 A4000002
	ds_read_b128 v[168:171], v2 offset:128                     // 000000003780: D9FE0080 A8000002
	ds_read_b128 v[172:175], v2 offset:192                     // 000000003788: D9FE00C0 AC000002
	ds_read_b128 v[176:179], v2 offset:1024                    // 000000003790: D9FE0400 B0000002
	ds_read_b128 v[180:183], v2 offset:1088                    // 000000003798: D9FE0440 B4000002
	ds_read_b128 v[184:187], v2 offset:1152                    // 0000000037A0: D9FE0480 B8000002
	ds_read_b128 v[188:191], v2 offset:1216                    // 0000000037A8: D9FE04C0 BC000002
	s_cmp_lt_i32 s7, 2                                         // 0000000037B0: BF048207
	s_cbranch_scc0 label_0C83                                  // 0000000037B4: BF840A15

00000000000037b8 <label_026E>:
	s_waitcnt vmcnt(8) lgkmcnt(0)                              // 0000000037B8: BF8C0078
	s_barrier                                                  // 0000000037BC: BF8A0000
	v_mfma_f32_16x16x32_fp8_fp8 v[128:131], a[0:1], v[160:161], v[128:131]// 0000000037C0: D3F30080 0E034100
	v_mfma_f32_16x16x32_fp8_fp8 v[128:131], a[2:3], v[162:163], v[128:131]// 0000000037C8: D3F30080 0E034502
	buffer_load_dwordx4 a[64:67], v32, s[92:95], 0 offen       // 0000000037D0: E05C1000 80974020
	v_mfma_f32_16x16x32_fp8_fp8 v[128:131], a[4:5], v[164:165], v[128:131]// 0000000037D8: D3F30080 0E034904
	v_mfma_f32_16x16x32_fp8_fp8 v[128:131], a[6:7], v[166:167], v[128:131]// 0000000037E0: D3F30080 0E034D06
	buffer_load_dword v24, s[20:23], 0 offen lds               // 0000000037E8: E0511000 80050018
	s_add_u32 m0, 0x100, s51                                   // 0000000037F0: 807C33FF 00000100
	v_mfma_f32_16x16x32_fp8_fp8 v[128:131], a[8:9], v[168:169], v[128:131]// 0000000037F8: D3F30080 0E035108
	v_mfma_f32_16x16x32_fp8_fp8 v[128:131], a[10:11], v[170:171], v[128:131]// 000000003800: D3F30080 0E03550A
	buffer_load_dwordx4 a[68:71], v32, s[92:95], 0 offen offset:1024// 000000003808: E05C1400 80974420
	v_mfma_f32_16x16x32_fp8_fp8 v[128:131], a[12:13], v[172:173], v[128:131]// 000000003810: D3F30080 0E03590C
	v_mfma_f32_16x16x32_fp8_fp8 v[128:131], a[14:15], v[174:175], v[128:131]// 000000003818: D3F30080 0E035D0E
	buffer_load_dword v25, s[20:23], 0 offen lds               // 000000003820: E0511000 80050019
	s_add_u32 m0, 0x200, s51                                   // 000000003828: 807C33FF 00000200
	v_mfma_f32_16x16x32_fp8_fp8 v[132:135], a[0:1], v[176:177], v[132:135]// 000000003830: D3F30084 0E136100
	v_mfma_f32_16x16x32_fp8_fp8 v[132:135], a[2:3], v[178:179], v[132:135]// 000000003838: D3F30084 0E136502
	buffer_load_dwordx4 a[72:75], v32, s[92:95], 0 offen offset:2048// 000000003840: E05C1800 80974820
	v_mfma_f32_16x16x32_fp8_fp8 v[132:135], a[4:5], v[180:181], v[132:135]// 000000003848: D3F30084 0E136904
	v_mfma_f32_16x16x32_fp8_fp8 v[132:135], a[6:7], v[182:183], v[132:135]// 000000003850: D3F30084 0E136D06
	buffer_load_dword v26, s[20:23], 0 offen lds               // 000000003858: E0511000 8005001A
	s_add_u32 m0, 0x300, s51                                   // 000000003860: 807C33FF 00000300
	v_mfma_f32_16x16x32_fp8_fp8 v[132:135], a[8:9], v[184:185], v[132:135]// 000000003868: D3F30084 0E137108
	v_mfma_f32_16x16x32_fp8_fp8 v[132:135], a[10:11], v[186:187], v[132:135]// 000000003870: D3F30084 0E13750A
	buffer_load_dwordx4 a[76:79], v32, s[92:95], 0 offen offset:3072// 000000003878: E05C1C00 80974C20
	v_mfma_f32_16x16x32_fp8_fp8 v[132:135], a[12:13], v[188:189], v[132:135]// 000000003880: D3F30084 0E13790C
	v_mfma_f32_16x16x32_fp8_fp8 v[132:135], a[14:15], v[190:191], v[132:135]// 000000003888: D3F30084 0E137D0E
	buffer_load_dword v27, s[20:23], 0 offen lds               // 000000003890: E0511000 8005001B
	s_add_u32 m0, 0x400, s51                                   // 000000003898: 807C33FF 00000400
	v_mfma_f32_16x16x32_fp8_fp8 v[136:139], a[16:17], v[160:161], v[136:139]// 0000000038A0: D3F30088 0E234110
	v_mfma_f32_16x16x32_fp8_fp8 v[136:139], a[18:19], v[162:163], v[136:139]// 0000000038A8: D3F30088 0E234512
	buffer_load_dwordx4 a[80:83], v33, s[92:95], 0 offen       // 0000000038B0: E05C1000 80975021
	v_mfma_f32_16x16x32_fp8_fp8 v[136:139], a[20:21], v[164:165], v[136:139]// 0000000038B8: D3F30088 0E234914
	v_mfma_f32_16x16x32_fp8_fp8 v[136:139], a[22:23], v[166:167], v[136:139]// 0000000038C0: D3F30088 0E234D16
	buffer_load_dword v28, s[20:23], 0 offen lds               // 0000000038C8: E0511000 8005001C
	s_add_u32 m0, 0x500, s51                                   // 0000000038D0: 807C33FF 00000500
	v_mfma_f32_16x16x32_fp8_fp8 v[136:139], a[24:25], v[168:169], v[136:139]// 0000000038D8: D3F30088 0E235118
	v_mfma_f32_16x16x32_fp8_fp8 v[136:139], a[26:27], v[170:171], v[136:139]// 0000000038E0: D3F30088 0E23551A
	buffer_load_dwordx4 a[84:87], v33, s[92:95], 0 offen offset:1024// 0000000038E8: E05C1400 80975421
	v_mfma_f32_16x16x32_fp8_fp8 v[136:139], a[28:29], v[172:173], v[136:139]// 0000000038F0: D3F30088 0E23591C
	v_mfma_f32_16x16x32_fp8_fp8 v[136:139], a[30:31], v[174:175], v[136:139]// 0000000038F8: D3F30088 0E235D1E
	buffer_load_dword v29, s[20:23], 0 offen lds               // 000000003900: E0511000 8005001D
	s_add_u32 m0, 0x600, s51                                   // 000000003908: 807C33FF 00000600
	v_mfma_f32_16x16x32_fp8_fp8 v[140:143], a[16:17], v[176:177], v[140:143]// 000000003910: D3F3008C 0E336110
	v_mfma_f32_16x16x32_fp8_fp8 v[140:143], a[18:19], v[178:179], v[140:143]// 000000003918: D3F3008C 0E336512
	buffer_load_dwordx4 a[88:91], v33, s[92:95], 0 offen offset:2048// 000000003920: E05C1800 80975821
	v_mfma_f32_16x16x32_fp8_fp8 v[140:143], a[20:21], v[180:181], v[140:143]// 000000003928: D3F3008C 0E336914
	v_mfma_f32_16x16x32_fp8_fp8 v[140:143], a[22:23], v[182:183], v[140:143]// 000000003930: D3F3008C 0E336D16
	buffer_load_dword v30, s[20:23], 0 offen lds               // 000000003938: E0511000 8005001E
	s_add_u32 m0, 0x700, s51                                   // 000000003940: 807C33FF 00000700
	v_mfma_f32_16x16x32_fp8_fp8 v[140:143], a[24:25], v[184:185], v[140:143]// 000000003948: D3F3008C 0E337118
	v_mfma_f32_16x16x32_fp8_fp8 v[140:143], a[26:27], v[186:187], v[140:143]// 000000003950: D3F3008C 0E33751A
	buffer_load_dwordx4 a[92:95], v33, s[92:95], 0 offen offset:3072// 000000003958: E05C1C00 80975C21
	v_mfma_f32_16x16x32_fp8_fp8 v[140:143], a[28:29], v[188:189], v[140:143]// 000000003960: D3F3008C 0E33791C
	v_mfma_f32_16x16x32_fp8_fp8 v[140:143], a[30:31], v[190:191], v[140:143]// 000000003968: D3F3008C 0E337D1E
	buffer_load_dword v31, s[20:23], 0 offen lds               // 000000003970: E0511000 8005001F
	s_add_u32 m0, 0, s50                                       // 000000003978: 807C3280
	s_waitcnt vmcnt(20)                                        // 00000000397C: BF8C4F74
	v_mfma_f32_16x16x32_fp8_fp8 v[144:147], a[32:33], v[160:161], v[144:147]// 000000003980: D3F30090 0E434120
	v_mfma_f32_16x16x32_fp8_fp8 v[144:147], a[34:35], v[162:163], v[144:147]// 000000003988: D3F30090 0E434522
	buffer_load_dwordx4 a[96:99], v34, s[92:95], 0 offen       // 000000003990: E05C1000 80976022
	v_mfma_f32_16x16x32_fp8_fp8 v[144:147], a[36:37], v[164:165], v[144:147]// 000000003998: D3F30090 0E434924
	v_mfma_f32_16x16x32_fp8_fp8 v[144:147], a[38:39], v[166:167], v[144:147]// 0000000039A0: D3F30090 0E434D26
	v_mfma_f32_16x16x32_fp8_fp8 v[144:147], a[40:41], v[168:169], v[144:147]// 0000000039A8: D3F30090 0E435128
	v_mfma_f32_16x16x32_fp8_fp8 v[144:147], a[42:43], v[170:171], v[144:147]// 0000000039B0: D3F30090 0E43552A
	buffer_load_dwordx4 a[100:103], v34, s[92:95], 0 offen offset:1024// 0000000039B8: E05C1400 80976422
	v_mfma_f32_16x16x32_fp8_fp8 v[144:147], a[44:45], v[172:173], v[144:147]// 0000000039C0: D3F30090 0E43592C
	v_mfma_f32_16x16x32_fp8_fp8 v[144:147], a[46:47], v[174:175], v[144:147]// 0000000039C8: D3F30090 0E435D2E
	v_mfma_f32_16x16x32_fp8_fp8 v[148:151], a[32:33], v[176:177], v[148:151]// 0000000039D0: D3F30094 0E536120
	v_mfma_f32_16x16x32_fp8_fp8 v[148:151], a[34:35], v[178:179], v[148:151]// 0000000039D8: D3F30094 0E536522
	buffer_load_dwordx4 a[104:107], v34, s[92:95], 0 offen offset:2048// 0000000039E0: E05C1800 80976822
	v_mfma_f32_16x16x32_fp8_fp8 v[148:151], a[36:37], v[180:181], v[148:151]// 0000000039E8: D3F30094 0E536924
	v_mfma_f32_16x16x32_fp8_fp8 v[148:151], a[38:39], v[182:183], v[148:151]// 0000000039F0: D3F30094 0E536D26
	v_mfma_f32_16x16x32_fp8_fp8 v[148:151], a[40:41], v[184:185], v[148:151]// 0000000039F8: D3F30094 0E537128
	v_mfma_f32_16x16x32_fp8_fp8 v[148:151], a[42:43], v[186:187], v[148:151]// 000000003A00: D3F30094 0E53752A
	buffer_load_dwordx4 a[108:111], v34, s[92:95], 0 offen offset:3072// 000000003A08: E05C1C00 80976C22
	v_mfma_f32_16x16x32_fp8_fp8 v[148:151], a[44:45], v[188:189], v[148:151]// 000000003A10: D3F30094 0E53792C
	v_mfma_f32_16x16x32_fp8_fp8 v[148:151], a[46:47], v[190:191], v[148:151]// 000000003A18: D3F30094 0E537D2E
	s_waitcnt vmcnt(20)                                        // 000000003A20: BF8C4F74
	v_mfma_f32_16x16x32_fp8_fp8 v[152:155], a[48:49], v[160:161], v[152:155]// 000000003A24: D3F30098 0E634130
	v_mfma_f32_16x16x32_fp8_fp8 v[152:155], a[50:51], v[162:163], v[152:155]// 000000003A2C: D3F30098 0E634532
	buffer_load_dwordx4 a[112:115], v35, s[92:95], 0 offen     // 000000003A34: E05C1000 80977023
	v_mfma_f32_16x16x32_fp8_fp8 v[152:155], a[52:53], v[164:165], v[152:155]// 000000003A3C: D3F30098 0E634934
	v_mfma_f32_16x16x32_fp8_fp8 v[152:155], a[54:55], v[166:167], v[152:155]// 000000003A44: D3F30098 0E634D36
	v_mfma_f32_16x16x32_fp8_fp8 v[152:155], a[56:57], v[168:169], v[152:155]// 000000003A4C: D3F30098 0E635138
	v_mfma_f32_16x16x32_fp8_fp8 v[152:155], a[58:59], v[170:171], v[152:155]// 000000003A54: D3F30098 0E63553A
	buffer_load_dwordx4 a[116:119], v35, s[92:95], 0 offen offset:1024// 000000003A5C: E05C1400 80977423
	v_mfma_f32_16x16x32_fp8_fp8 v[152:155], a[60:61], v[172:173], v[152:155]// 000000003A64: D3F30098 0E63593C
	v_mfma_f32_16x16x32_fp8_fp8 v[152:155], a[62:63], v[174:175], v[152:155]// 000000003A6C: D3F30098 0E635D3E
	v_mfma_f32_16x16x32_fp8_fp8 v[156:159], a[48:49], v[176:177], v[156:159]// 000000003A74: D3F3009C 0E736130
	v_mfma_f32_16x16x32_fp8_fp8 v[156:159], a[50:51], v[178:179], v[156:159]// 000000003A7C: D3F3009C 0E736532
	buffer_load_dwordx4 a[120:123], v35, s[92:95], 0 offen offset:2048// 000000003A84: E05C1800 80977823
	v_mfma_f32_16x16x32_fp8_fp8 v[156:159], a[52:53], v[180:181], v[156:159]// 000000003A8C: D3F3009C 0E736934
	v_mfma_f32_16x16x32_fp8_fp8 v[156:159], a[54:55], v[182:183], v[156:159]// 000000003A94: D3F3009C 0E736D36
	v_mfma_f32_16x16x32_fp8_fp8 v[156:159], a[56:57], v[184:185], v[156:159]// 000000003A9C: D3F3009C 0E737138
	v_mfma_f32_16x16x32_fp8_fp8 v[156:159], a[58:59], v[186:187], v[156:159]// 000000003AA4: D3F3009C 0E73753A
	buffer_load_dwordx4 a[124:127], v35, s[92:95], 0 offen offset:3072// 000000003AAC: E05C1C00 80977C23
	v_mfma_f32_16x16x32_fp8_fp8 v[156:159], a[60:61], v[188:189], v[156:159]// 000000003AB4: D3F3009C 0E73793C
	v_mfma_f32_16x16x32_fp8_fp8 v[156:159], a[62:63], v[190:191], v[156:159]// 000000003ABC: D3F3009C 0E737D3E
	s_waitcnt vmcnt(8)                                         // 000000003AC4: BF8C0F78
	s_barrier                                                  // 000000003AC8: BF8A0000
	v_mfma_f32_16x16x32_fp8_fp8 v[64:67], a[64:65], v[160:161], v[64:67]// 000000003ACC: D3F30040 0D034140
	v_mfma_f32_16x16x32_fp8_fp8 v[64:67], a[66:67], v[162:163], v[64:67]// 000000003AD4: D3F30040 0D034542
	buffer_load_dwordx4 a[0:3], v32, s[24:27], 0 offen         // 000000003ADC: E05C1000 80860020
	v_mfma_f32_16x16x32_fp8_fp8 v[64:67], a[68:69], v[164:165], v[64:67]// 000000003AE4: D3F30040 0D034944
	v_mfma_f32_16x16x32_fp8_fp8 v[64:67], a[70:71], v[166:167], v[64:67]// 000000003AEC: D3F30040 0D034D46
	v_mfma_f32_16x16x32_fp8_fp8 v[64:67], a[72:73], v[168:169], v[64:67]// 000000003AF4: D3F30040 0D035148
	v_mfma_f32_16x16x32_fp8_fp8 v[64:67], a[74:75], v[170:171], v[64:67]// 000000003AFC: D3F30040 0D03554A
	buffer_load_dwordx4 a[4:7], v32, s[24:27], 0 offen offset:1024// 000000003B04: E05C1400 80860420
	v_mfma_f32_16x16x32_fp8_fp8 v[64:67], a[76:77], v[172:173], v[64:67]// 000000003B0C: D3F30040 0D03594C
	v_mfma_f32_16x16x32_fp8_fp8 v[64:67], a[78:79], v[174:175], v[64:67]// 000000003B14: D3F30040 0D035D4E
	v_mfma_f32_16x16x32_fp8_fp8 v[68:71], a[64:65], v[176:177], v[68:71]// 000000003B1C: D3F30044 0D136140
	v_mfma_f32_16x16x32_fp8_fp8 v[68:71], a[66:67], v[178:179], v[68:71]// 000000003B24: D3F30044 0D136542
	buffer_load_dwordx4 a[8:11], v32, s[24:27], 0 offen offset:2048// 000000003B2C: E05C1800 80860820
	v_mfma_f32_16x16x32_fp8_fp8 v[68:71], a[68:69], v[180:181], v[68:71]// 000000003B34: D3F30044 0D136944
	v_mfma_f32_16x16x32_fp8_fp8 v[68:71], a[70:71], v[182:183], v[68:71]// 000000003B3C: D3F30044 0D136D46
	v_mfma_f32_16x16x32_fp8_fp8 v[68:71], a[72:73], v[184:185], v[68:71]// 000000003B44: D3F30044 0D137148
	v_mfma_f32_16x16x32_fp8_fp8 v[68:71], a[74:75], v[186:187], v[68:71]// 000000003B4C: D3F30044 0D13754A
	buffer_load_dwordx4 a[12:15], v32, s[24:27], 0 offen offset:3072// 000000003B54: E05C1C00 80860C20
	v_mfma_f32_16x16x32_fp8_fp8 v[68:71], a[76:77], v[188:189], v[68:71]// 000000003B5C: D3F30044 0D13794C
	v_mfma_f32_16x16x32_fp8_fp8 v[68:71], a[78:79], v[190:191], v[68:71]// 000000003B64: D3F30044 0D137D4E
	v_mfma_f32_16x16x32_fp8_fp8 v[72:75], a[80:81], v[160:161], v[72:75]// 000000003B6C: D3F30048 0D234150
	v_mfma_f32_16x16x32_fp8_fp8 v[72:75], a[82:83], v[162:163], v[72:75]// 000000003B74: D3F30048 0D234552
	buffer_load_dwordx4 a[16:19], v33, s[24:27], 0 offen       // 000000003B7C: E05C1000 80861021
	v_mfma_f32_16x16x32_fp8_fp8 v[72:75], a[84:85], v[164:165], v[72:75]// 000000003B84: D3F30048 0D234954
	v_mfma_f32_16x16x32_fp8_fp8 v[72:75], a[86:87], v[166:167], v[72:75]// 000000003B8C: D3F30048 0D234D56
	v_mfma_f32_16x16x32_fp8_fp8 v[72:75], a[88:89], v[168:169], v[72:75]// 000000003B94: D3F30048 0D235158
	v_mfma_f32_16x16x32_fp8_fp8 v[72:75], a[90:91], v[170:171], v[72:75]// 000000003B9C: D3F30048 0D23555A
	buffer_load_dwordx4 a[20:23], v33, s[24:27], 0 offen offset:1024// 000000003BA4: E05C1400 80861421
	v_mfma_f32_16x16x32_fp8_fp8 v[72:75], a[92:93], v[172:173], v[72:75]// 000000003BAC: D3F30048 0D23595C
	v_mfma_f32_16x16x32_fp8_fp8 v[72:75], a[94:95], v[174:175], v[72:75]// 000000003BB4: D3F30048 0D235D5E
	v_mfma_f32_16x16x32_fp8_fp8 v[76:79], a[80:81], v[176:177], v[76:79]// 000000003BBC: D3F3004C 0D336150
	v_mfma_f32_16x16x32_fp8_fp8 v[76:79], a[82:83], v[178:179], v[76:79]// 000000003BC4: D3F3004C 0D336552
	buffer_load_dwordx4 a[24:27], v33, s[24:27], 0 offen offset:2048// 000000003BCC: E05C1800 80861821
	v_mfma_f32_16x16x32_fp8_fp8 v[76:79], a[84:85], v[180:181], v[76:79]// 000000003BD4: D3F3004C 0D336954
	v_mfma_f32_16x16x32_fp8_fp8 v[76:79], a[86:87], v[182:183], v[76:79]// 000000003BDC: D3F3004C 0D336D56
	v_mfma_f32_16x16x32_fp8_fp8 v[76:79], a[88:89], v[184:185], v[76:79]// 000000003BE4: D3F3004C 0D337158
	v_mfma_f32_16x16x32_fp8_fp8 v[76:79], a[90:91], v[186:187], v[76:79]// 000000003BEC: D3F3004C 0D33755A
	buffer_load_dwordx4 a[28:31], v33, s[24:27], 0 offen offset:3072// 000000003BF4: E05C1C00 80861C21
	v_mfma_f32_16x16x32_fp8_fp8 v[76:79], a[92:93], v[188:189], v[76:79]// 000000003BFC: D3F3004C 0D33795C
	v_mfma_f32_16x16x32_fp8_fp8 v[76:79], a[94:95], v[190:191], v[76:79]// 000000003C04: D3F3004C 0D337D5E
	s_waitcnt vmcnt(12)                                        // 000000003C0C: BF8C0F7C
	v_mfma_f32_16x16x32_fp8_fp8 v[80:83], a[96:97], v[160:161], v[80:83]// 000000003C10: D3F30050 0D434160
	v_mfma_f32_16x16x32_fp8_fp8 v[80:83], a[98:99], v[162:163], v[80:83]// 000000003C18: D3F30050 0D434562
	buffer_load_dwordx4 a[32:35], v34, s[24:27], 0 offen       // 000000003C20: E05C1000 80862022
	v_mfma_f32_16x16x32_fp8_fp8 v[80:83], a[100:101], v[164:165], v[80:83]// 000000003C28: D3F30050 0D434964
	v_mfma_f32_16x16x32_fp8_fp8 v[80:83], a[102:103], v[166:167], v[80:83]// 000000003C30: D3F30050 0D434D66
	ds_read_b128 v[192:195], v2 offset:8320                    // 000000003C38: D9FE2080 C0000002
	v_mfma_f32_16x16x32_fp8_fp8 v[80:83], a[104:105], v[168:169], v[80:83]// 000000003C40: D3F30050 0D435168
	v_mfma_f32_16x16x32_fp8_fp8 v[80:83], a[106:107], v[170:171], v[80:83]// 000000003C48: D3F30050 0D43556A
	buffer_load_dwordx4 a[36:39], v34, s[24:27], 0 offen offset:1024// 000000003C50: E05C1400 80862422
	v_mfma_f32_16x16x32_fp8_fp8 v[80:83], a[108:109], v[172:173], v[80:83]// 000000003C58: D3F30050 0D43596C
	v_mfma_f32_16x16x32_fp8_fp8 v[80:83], a[110:111], v[174:175], v[80:83]// 000000003C60: D3F30050 0D435D6E
	ds_read_b128 v[196:199], v2 offset:8384                    // 000000003C68: D9FE20C0 C4000002
	v_mfma_f32_16x16x32_fp8_fp8 v[84:87], a[96:97], v[176:177], v[84:87]// 000000003C70: D3F30054 0D536160
	v_mfma_f32_16x16x32_fp8_fp8 v[84:87], a[98:99], v[178:179], v[84:87]// 000000003C78: D3F30054 0D536562
	buffer_load_dwordx4 a[40:43], v34, s[24:27], 0 offen offset:2048// 000000003C80: E05C1800 80862822
	v_mfma_f32_16x16x32_fp8_fp8 v[84:87], a[100:101], v[180:181], v[84:87]// 000000003C88: D3F30054 0D536964
	v_mfma_f32_16x16x32_fp8_fp8 v[84:87], a[102:103], v[182:183], v[84:87]// 000000003C90: D3F30054 0D536D66
	ds_read_b128 v[200:203], v2 offset:8448                    // 000000003C98: D9FE2100 C8000002
	v_mfma_f32_16x16x32_fp8_fp8 v[84:87], a[104:105], v[184:185], v[84:87]// 000000003CA0: D3F30054 0D537168
	v_mfma_f32_16x16x32_fp8_fp8 v[84:87], a[106:107], v[186:187], v[84:87]// 000000003CA8: D3F30054 0D53756A
	buffer_load_dwordx4 a[44:47], v34, s[24:27], 0 offen offset:3072// 000000003CB0: E05C1C00 80862C22
	v_mfma_f32_16x16x32_fp8_fp8 v[84:87], a[108:109], v[188:189], v[84:87]// 000000003CB8: D3F30054 0D53796C
	v_mfma_f32_16x16x32_fp8_fp8 v[84:87], a[110:111], v[190:191], v[84:87]// 000000003CC0: D3F30054 0D537D6E
	ds_read_b128 v[204:207], v2 offset:8512                    // 000000003CC8: D9FE2140 CC000002
	s_waitcnt vmcnt(12)                                        // 000000003CD0: BF8C0F7C
	v_mfma_f32_16x16x32_fp8_fp8 v[88:91], a[112:113], v[160:161], v[88:91]// 000000003CD4: D3F30058 0D634170
	v_mfma_f32_16x16x32_fp8_fp8 v[88:91], a[114:115], v[162:163], v[88:91]// 000000003CDC: D3F30058 0D634572
	buffer_load_dwordx4 a[48:51], v35, s[24:27], 0 offen       // 000000003CE4: E05C1000 80863023
	v_mfma_f32_16x16x32_fp8_fp8 v[88:91], a[116:117], v[164:165], v[88:91]// 000000003CEC: D3F30058 0D634974
	v_mfma_f32_16x16x32_fp8_fp8 v[88:91], a[118:119], v[166:167], v[88:91]// 000000003CF4: D3F30058 0D634D76
	ds_read_b128 v[208:211], v2 offset:9344                    // 000000003CFC: D9FE2480 D0000002
	v_mfma_f32_16x16x32_fp8_fp8 v[88:91], a[120:121], v[168:169], v[88:91]// 000000003D04: D3F30058 0D635178
	v_mfma_f32_16x16x32_fp8_fp8 v[88:91], a[122:123], v[170:171], v[88:91]// 000000003D0C: D3F30058 0D63557A
	buffer_load_dwordx4 a[52:55], v35, s[24:27], 0 offen offset:1024// 000000003D14: E05C1400 80863423
	v_mfma_f32_16x16x32_fp8_fp8 v[88:91], a[124:125], v[172:173], v[88:91]// 000000003D1C: D3F30058 0D63597C
	v_mfma_f32_16x16x32_fp8_fp8 v[88:91], a[126:127], v[174:175], v[88:91]// 000000003D24: D3F30058 0D635D7E
	ds_read_b128 v[212:215], v2 offset:9408                    // 000000003D2C: D9FE24C0 D4000002
	v_mfma_f32_16x16x32_fp8_fp8 v[92:95], a[112:113], v[176:177], v[92:95]// 000000003D34: D3F3005C 0D736170
	v_mfma_f32_16x16x32_fp8_fp8 v[92:95], a[114:115], v[178:179], v[92:95]// 000000003D3C: D3F3005C 0D736572
	buffer_load_dwordx4 a[56:59], v35, s[24:27], 0 offen offset:2048// 000000003D44: E05C1800 80863823
	v_mfma_f32_16x16x32_fp8_fp8 v[92:95], a[116:117], v[180:181], v[92:95]// 000000003D4C: D3F3005C 0D736974
	v_mfma_f32_16x16x32_fp8_fp8 v[92:95], a[118:119], v[182:183], v[92:95]// 000000003D54: D3F3005C 0D736D76
	ds_read_b128 v[216:219], v2 offset:9472                    // 000000003D5C: D9FE2500 D8000002
	v_mfma_f32_16x16x32_fp8_fp8 v[92:95], a[120:121], v[184:185], v[92:95]// 000000003D64: D3F3005C 0D737178
	v_mfma_f32_16x16x32_fp8_fp8 v[92:95], a[122:123], v[186:187], v[92:95]// 000000003D6C: D3F3005C 0D73757A
	buffer_load_dwordx4 a[60:63], v35, s[24:27], 0 offen offset:3072// 000000003D74: E05C1C00 80863C23
	v_mfma_f32_16x16x32_fp8_fp8 v[92:95], a[124:125], v[188:189], v[92:95]// 000000003D7C: D3F3005C 0D73797C
	v_mfma_f32_16x16x32_fp8_fp8 v[92:95], a[126:127], v[190:191], v[92:95]// 000000003D84: D3F3005C 0D737D7E
	ds_read_b128 v[220:223], v2 offset:9536                    // 000000003D8C: D9FE2540 DC000002
	s_add_u32 s60, 0x200, s80                                  // 000000003D94: 803C50FF 00000200
	s_cmp_lt_u32 s60, s81                                      // 000000003D9C: BF0A513C
	s_cselect_b32 s57, s57, 0                                  // 000000003DA0: 85398039
	s_add_u32 s60, 0x200, s80                                  // 000000003DA4: 803C50FF 00000200
	s_cmp_lt_u32 s60, s81                                      // 000000003DAC: BF0A513C
	s_cselect_b32 s58, s58, 0                                  // 000000003DB0: 853A803A
	s_add_u32 s20, s57, s20                                    // 000000003DB4: 80141439
	s_addc_u32 s21, 0, s21                                     // 000000003DB8: 82151580
	s_add_u32 s24, s58, s24                                    // 000000003DBC: 8018183A
	s_addc_u32 s25, 0, s25                                     // 000000003DC0: 82191980
	s_add_u32 s92, s90, s92                                    // 000000003DC4: 805C5C5A
	s_addc_u32 s93, 0, s93                                     // 000000003DC8: 825D5D80
	s_addk_i32 s80, 0x100                                      // 000000003DCC: B7500100
	s_cmp_lt_i32 s80, s81                                      // 000000003DD0: BF045150
	s_cbranch_scc0 label_057F                                  // 000000003DD4: BF840189
	s_waitcnt vmcnt(8) lgkmcnt(0)                              // 000000003DD8: BF8C0078
	s_barrier                                                  // 000000003DDC: BF8A0000
	v_mfma_f32_16x16x32_fp8_fp8 v[128:131], a[0:1], v[192:193], v[128:131]// 000000003DE0: D3F30080 0E038100
	v_mfma_f32_16x16x32_fp8_fp8 v[128:131], a[2:3], v[194:195], v[128:131]// 000000003DE8: D3F30080 0E038502
	buffer_load_dwordx4 a[64:67], v32, s[92:95], 0 offen       // 000000003DF0: E05C1000 80974020
	v_mfma_f32_16x16x32_fp8_fp8 v[128:131], a[4:5], v[196:197], v[128:131]// 000000003DF8: D3F30080 0E038904
	v_mfma_f32_16x16x32_fp8_fp8 v[128:131], a[6:7], v[198:199], v[128:131]// 000000003E00: D3F30080 0E038D06
	buffer_load_dword v24, s[20:23], 0 offen lds               // 000000003E08: E0511000 80050018
	s_add_u32 m0, 0x100, s50                                   // 000000003E10: 807C32FF 00000100
	v_mfma_f32_16x16x32_fp8_fp8 v[128:131], a[8:9], v[200:201], v[128:131]// 000000003E18: D3F30080 0E039108
	v_mfma_f32_16x16x32_fp8_fp8 v[128:131], a[10:11], v[202:203], v[128:131]// 000000003E20: D3F30080 0E03950A
	buffer_load_dwordx4 a[68:71], v32, s[92:95], 0 offen offset:1024// 000000003E28: E05C1400 80974420
	v_mfma_f32_16x16x32_fp8_fp8 v[128:131], a[12:13], v[204:205], v[128:131]// 000000003E30: D3F30080 0E03990C
	v_mfma_f32_16x16x32_fp8_fp8 v[128:131], a[14:15], v[206:207], v[128:131]// 000000003E38: D3F30080 0E039D0E
	buffer_load_dword v25, s[20:23], 0 offen lds               // 000000003E40: E0511000 80050019
	s_add_u32 m0, 0x200, s50                                   // 000000003E48: 807C32FF 00000200
	v_mfma_f32_16x16x32_fp8_fp8 v[132:135], a[0:1], v[208:209], v[132:135]// 000000003E50: D3F30084 0E13A100
	v_mfma_f32_16x16x32_fp8_fp8 v[132:135], a[2:3], v[210:211], v[132:135]// 000000003E58: D3F30084 0E13A502
	buffer_load_dwordx4 a[72:75], v32, s[92:95], 0 offen offset:2048// 000000003E60: E05C1800 80974820
	v_mfma_f32_16x16x32_fp8_fp8 v[132:135], a[4:5], v[212:213], v[132:135]// 000000003E68: D3F30084 0E13A904
	v_mfma_f32_16x16x32_fp8_fp8 v[132:135], a[6:7], v[214:215], v[132:135]// 000000003E70: D3F30084 0E13AD06
	buffer_load_dword v26, s[20:23], 0 offen lds               // 000000003E78: E0511000 8005001A
	s_add_u32 m0, 0x300, s50                                   // 000000003E80: 807C32FF 00000300
	v_mfma_f32_16x16x32_fp8_fp8 v[132:135], a[8:9], v[216:217], v[132:135]// 000000003E88: D3F30084 0E13B108
	v_mfma_f32_16x16x32_fp8_fp8 v[132:135], a[10:11], v[218:219], v[132:135]// 000000003E90: D3F30084 0E13B50A
	buffer_load_dwordx4 a[76:79], v32, s[92:95], 0 offen offset:3072// 000000003E98: E05C1C00 80974C20
	v_mfma_f32_16x16x32_fp8_fp8 v[132:135], a[12:13], v[220:221], v[132:135]// 000000003EA0: D3F30084 0E13B90C
	v_mfma_f32_16x16x32_fp8_fp8 v[132:135], a[14:15], v[222:223], v[132:135]// 000000003EA8: D3F30084 0E13BD0E
	buffer_load_dword v27, s[20:23], 0 offen lds               // 000000003EB0: E0511000 8005001B
	s_add_u32 m0, 0x400, s50                                   // 000000003EB8: 807C32FF 00000400
	v_mfma_f32_16x16x32_fp8_fp8 v[136:139], a[16:17], v[192:193], v[136:139]// 000000003EC0: D3F30088 0E238110
	v_mfma_f32_16x16x32_fp8_fp8 v[136:139], a[18:19], v[194:195], v[136:139]// 000000003EC8: D3F30088 0E238512
	buffer_load_dwordx4 a[80:83], v33, s[92:95], 0 offen       // 000000003ED0: E05C1000 80975021
	v_mfma_f32_16x16x32_fp8_fp8 v[136:139], a[20:21], v[196:197], v[136:139]// 000000003ED8: D3F30088 0E238914
	v_mfma_f32_16x16x32_fp8_fp8 v[136:139], a[22:23], v[198:199], v[136:139]// 000000003EE0: D3F30088 0E238D16
	buffer_load_dword v28, s[20:23], 0 offen lds               // 000000003EE8: E0511000 8005001C
	s_add_u32 m0, 0x500, s50                                   // 000000003EF0: 807C32FF 00000500
	v_mfma_f32_16x16x32_fp8_fp8 v[136:139], a[24:25], v[200:201], v[136:139]// 000000003EF8: D3F30088 0E239118
	v_mfma_f32_16x16x32_fp8_fp8 v[136:139], a[26:27], v[202:203], v[136:139]// 000000003F00: D3F30088 0E23951A
	buffer_load_dwordx4 a[84:87], v33, s[92:95], 0 offen offset:1024// 000000003F08: E05C1400 80975421
	v_mfma_f32_16x16x32_fp8_fp8 v[136:139], a[28:29], v[204:205], v[136:139]// 000000003F10: D3F30088 0E23991C
	v_mfma_f32_16x16x32_fp8_fp8 v[136:139], a[30:31], v[206:207], v[136:139]// 000000003F18: D3F30088 0E239D1E
	buffer_load_dword v29, s[20:23], 0 offen lds               // 000000003F20: E0511000 8005001D
	s_add_u32 m0, 0x600, s50                                   // 000000003F28: 807C32FF 00000600
	v_mfma_f32_16x16x32_fp8_fp8 v[140:143], a[16:17], v[208:209], v[140:143]// 000000003F30: D3F3008C 0E33A110
	v_mfma_f32_16x16x32_fp8_fp8 v[140:143], a[18:19], v[210:211], v[140:143]// 000000003F38: D3F3008C 0E33A512
	buffer_load_dwordx4 a[88:91], v33, s[92:95], 0 offen offset:2048// 000000003F40: E05C1800 80975821
	v_mfma_f32_16x16x32_fp8_fp8 v[140:143], a[20:21], v[212:213], v[140:143]// 000000003F48: D3F3008C 0E33A914
	v_mfma_f32_16x16x32_fp8_fp8 v[140:143], a[22:23], v[214:215], v[140:143]// 000000003F50: D3F3008C 0E33AD16
	buffer_load_dword v30, s[20:23], 0 offen lds               // 000000003F58: E0511000 8005001E
	s_add_u32 m0, 0x700, s50                                   // 000000003F60: 807C32FF 00000700
	v_mfma_f32_16x16x32_fp8_fp8 v[140:143], a[24:25], v[216:217], v[140:143]// 000000003F68: D3F3008C 0E33B118
	v_mfma_f32_16x16x32_fp8_fp8 v[140:143], a[26:27], v[218:219], v[140:143]// 000000003F70: D3F3008C 0E33B51A
	buffer_load_dwordx4 a[92:95], v33, s[92:95], 0 offen offset:3072// 000000003F78: E05C1C00 80975C21
	v_mfma_f32_16x16x32_fp8_fp8 v[140:143], a[28:29], v[220:221], v[140:143]// 000000003F80: D3F3008C 0E33B91C
	v_mfma_f32_16x16x32_fp8_fp8 v[140:143], a[30:31], v[222:223], v[140:143]// 000000003F88: D3F3008C 0E33BD1E
	buffer_load_dword v31, s[20:23], 0 offen lds               // 000000003F90: E0511000 8005001F
	s_add_u32 m0, 0, s51                                       // 000000003F98: 807C3380
	s_waitcnt vmcnt(20)                                        // 000000003F9C: BF8C4F74
	v_mfma_f32_16x16x32_fp8_fp8 v[144:147], a[32:33], v[192:193], v[144:147]// 000000003FA0: D3F30090 0E438120
	v_mfma_f32_16x16x32_fp8_fp8 v[144:147], a[34:35], v[194:195], v[144:147]// 000000003FA8: D3F30090 0E438522
	buffer_load_dwordx4 a[96:99], v34, s[92:95], 0 offen       // 000000003FB0: E05C1000 80976022
	v_mfma_f32_16x16x32_fp8_fp8 v[144:147], a[36:37], v[196:197], v[144:147]// 000000003FB8: D3F30090 0E438924
	v_mfma_f32_16x16x32_fp8_fp8 v[144:147], a[38:39], v[198:199], v[144:147]// 000000003FC0: D3F30090 0E438D26
	v_mfma_f32_16x16x32_fp8_fp8 v[144:147], a[40:41], v[200:201], v[144:147]// 000000003FC8: D3F30090 0E439128
	v_mfma_f32_16x16x32_fp8_fp8 v[144:147], a[42:43], v[202:203], v[144:147]// 000000003FD0: D3F30090 0E43952A
	buffer_load_dwordx4 a[100:103], v34, s[92:95], 0 offen offset:1024// 000000003FD8: E05C1400 80976422
	v_mfma_f32_16x16x32_fp8_fp8 v[144:147], a[44:45], v[204:205], v[144:147]// 000000003FE0: D3F30090 0E43992C
	v_mfma_f32_16x16x32_fp8_fp8 v[144:147], a[46:47], v[206:207], v[144:147]// 000000003FE8: D3F30090 0E439D2E
	v_mfma_f32_16x16x32_fp8_fp8 v[148:151], a[32:33], v[208:209], v[148:151]// 000000003FF0: D3F30094 0E53A120
	v_mfma_f32_16x16x32_fp8_fp8 v[148:151], a[34:35], v[210:211], v[148:151]// 000000003FF8: D3F30094 0E53A522
	buffer_load_dwordx4 a[104:107], v34, s[92:95], 0 offen offset:2048// 000000004000: E05C1800 80976822
	v_mfma_f32_16x16x32_fp8_fp8 v[148:151], a[36:37], v[212:213], v[148:151]// 000000004008: D3F30094 0E53A924
	v_mfma_f32_16x16x32_fp8_fp8 v[148:151], a[38:39], v[214:215], v[148:151]// 000000004010: D3F30094 0E53AD26
	v_mfma_f32_16x16x32_fp8_fp8 v[148:151], a[40:41], v[216:217], v[148:151]// 000000004018: D3F30094 0E53B128
	v_mfma_f32_16x16x32_fp8_fp8 v[148:151], a[42:43], v[218:219], v[148:151]// 000000004020: D3F30094 0E53B52A
	buffer_load_dwordx4 a[108:111], v34, s[92:95], 0 offen offset:3072// 000000004028: E05C1C00 80976C22
	v_mfma_f32_16x16x32_fp8_fp8 v[148:151], a[44:45], v[220:221], v[148:151]// 000000004030: D3F30094 0E53B92C
	v_mfma_f32_16x16x32_fp8_fp8 v[148:151], a[46:47], v[222:223], v[148:151]// 000000004038: D3F30094 0E53BD2E
	s_waitcnt vmcnt(20)                                        // 000000004040: BF8C4F74
	v_mfma_f32_16x16x32_fp8_fp8 v[152:155], a[48:49], v[192:193], v[152:155]// 000000004044: D3F30098 0E638130
	v_mfma_f32_16x16x32_fp8_fp8 v[152:155], a[50:51], v[194:195], v[152:155]// 00000000404C: D3F30098 0E638532
	buffer_load_dwordx4 a[112:115], v35, s[92:95], 0 offen     // 000000004054: E05C1000 80977023
	v_mfma_f32_16x16x32_fp8_fp8 v[152:155], a[52:53], v[196:197], v[152:155]// 00000000405C: D3F30098 0E638934
	v_mfma_f32_16x16x32_fp8_fp8 v[152:155], a[54:55], v[198:199], v[152:155]// 000000004064: D3F30098 0E638D36
	v_mfma_f32_16x16x32_fp8_fp8 v[152:155], a[56:57], v[200:201], v[152:155]// 00000000406C: D3F30098 0E639138
	v_mfma_f32_16x16x32_fp8_fp8 v[152:155], a[58:59], v[202:203], v[152:155]// 000000004074: D3F30098 0E63953A
	buffer_load_dwordx4 a[116:119], v35, s[92:95], 0 offen offset:1024// 00000000407C: E05C1400 80977423
	v_mfma_f32_16x16x32_fp8_fp8 v[152:155], a[60:61], v[204:205], v[152:155]// 000000004084: D3F30098 0E63993C
	v_mfma_f32_16x16x32_fp8_fp8 v[152:155], a[62:63], v[206:207], v[152:155]// 00000000408C: D3F30098 0E639D3E
	v_mfma_f32_16x16x32_fp8_fp8 v[156:159], a[48:49], v[208:209], v[156:159]// 000000004094: D3F3009C 0E73A130
	v_mfma_f32_16x16x32_fp8_fp8 v[156:159], a[50:51], v[210:211], v[156:159]// 00000000409C: D3F3009C 0E73A532
	buffer_load_dwordx4 a[120:123], v35, s[92:95], 0 offen offset:2048// 0000000040A4: E05C1800 80977823
	v_mfma_f32_16x16x32_fp8_fp8 v[156:159], a[52:53], v[212:213], v[156:159]// 0000000040AC: D3F3009C 0E73A934
	v_mfma_f32_16x16x32_fp8_fp8 v[156:159], a[54:55], v[214:215], v[156:159]// 0000000040B4: D3F3009C 0E73AD36
	v_mfma_f32_16x16x32_fp8_fp8 v[156:159], a[56:57], v[216:217], v[156:159]// 0000000040BC: D3F3009C 0E73B138
	v_mfma_f32_16x16x32_fp8_fp8 v[156:159], a[58:59], v[218:219], v[156:159]// 0000000040C4: D3F3009C 0E73B53A
	buffer_load_dwordx4 a[124:127], v35, s[92:95], 0 offen offset:3072// 0000000040CC: E05C1C00 80977C23
	v_mfma_f32_16x16x32_fp8_fp8 v[156:159], a[60:61], v[220:221], v[156:159]// 0000000040D4: D3F3009C 0E73B93C
	v_mfma_f32_16x16x32_fp8_fp8 v[156:159], a[62:63], v[222:223], v[156:159]// 0000000040DC: D3F3009C 0E73BD3E
	s_waitcnt vmcnt(8)                                         // 0000000040E4: BF8C0F78
	s_barrier                                                  // 0000000040E8: BF8A0000
	v_mfma_f32_16x16x32_fp8_fp8 v[64:67], a[64:65], v[192:193], v[64:67]// 0000000040EC: D3F30040 0D038140
	v_mfma_f32_16x16x32_fp8_fp8 v[64:67], a[66:67], v[194:195], v[64:67]// 0000000040F4: D3F30040 0D038542
	buffer_load_dwordx4 a[0:3], v32, s[24:27], 0 offen         // 0000000040FC: E05C1000 80860020
	v_mfma_f32_16x16x32_fp8_fp8 v[64:67], a[68:69], v[196:197], v[64:67]// 000000004104: D3F30040 0D038944
	v_mfma_f32_16x16x32_fp8_fp8 v[64:67], a[70:71], v[198:199], v[64:67]// 00000000410C: D3F30040 0D038D46
	v_mfma_f32_16x16x32_fp8_fp8 v[64:67], a[72:73], v[200:201], v[64:67]// 000000004114: D3F30040 0D039148
	v_mfma_f32_16x16x32_fp8_fp8 v[64:67], a[74:75], v[202:203], v[64:67]// 00000000411C: D3F30040 0D03954A
	buffer_load_dwordx4 a[4:7], v32, s[24:27], 0 offen offset:1024// 000000004124: E05C1400 80860420
	v_mfma_f32_16x16x32_fp8_fp8 v[64:67], a[76:77], v[204:205], v[64:67]// 00000000412C: D3F30040 0D03994C
	v_mfma_f32_16x16x32_fp8_fp8 v[64:67], a[78:79], v[206:207], v[64:67]// 000000004134: D3F30040 0D039D4E
	v_mfma_f32_16x16x32_fp8_fp8 v[68:71], a[64:65], v[208:209], v[68:71]// 00000000413C: D3F30044 0D13A140
	v_mfma_f32_16x16x32_fp8_fp8 v[68:71], a[66:67], v[210:211], v[68:71]// 000000004144: D3F30044 0D13A542
	buffer_load_dwordx4 a[8:11], v32, s[24:27], 0 offen offset:2048// 00000000414C: E05C1800 80860820
	v_mfma_f32_16x16x32_fp8_fp8 v[68:71], a[68:69], v[212:213], v[68:71]// 000000004154: D3F30044 0D13A944
	v_mfma_f32_16x16x32_fp8_fp8 v[68:71], a[70:71], v[214:215], v[68:71]// 00000000415C: D3F30044 0D13AD46
	v_mfma_f32_16x16x32_fp8_fp8 v[68:71], a[72:73], v[216:217], v[68:71]// 000000004164: D3F30044 0D13B148
	v_mfma_f32_16x16x32_fp8_fp8 v[68:71], a[74:75], v[218:219], v[68:71]// 00000000416C: D3F30044 0D13B54A
	buffer_load_dwordx4 a[12:15], v32, s[24:27], 0 offen offset:3072// 000000004174: E05C1C00 80860C20
	v_mfma_f32_16x16x32_fp8_fp8 v[68:71], a[76:77], v[220:221], v[68:71]// 00000000417C: D3F30044 0D13B94C
	v_mfma_f32_16x16x32_fp8_fp8 v[68:71], a[78:79], v[222:223], v[68:71]// 000000004184: D3F30044 0D13BD4E
	v_mfma_f32_16x16x32_fp8_fp8 v[72:75], a[80:81], v[192:193], v[72:75]// 00000000418C: D3F30048 0D238150
	v_mfma_f32_16x16x32_fp8_fp8 v[72:75], a[82:83], v[194:195], v[72:75]// 000000004194: D3F30048 0D238552
	buffer_load_dwordx4 a[16:19], v33, s[24:27], 0 offen       // 00000000419C: E05C1000 80861021
	v_mfma_f32_16x16x32_fp8_fp8 v[72:75], a[84:85], v[196:197], v[72:75]// 0000000041A4: D3F30048 0D238954
	v_mfma_f32_16x16x32_fp8_fp8 v[72:75], a[86:87], v[198:199], v[72:75]// 0000000041AC: D3F30048 0D238D56
	v_mfma_f32_16x16x32_fp8_fp8 v[72:75], a[88:89], v[200:201], v[72:75]// 0000000041B4: D3F30048 0D239158
	v_mfma_f32_16x16x32_fp8_fp8 v[72:75], a[90:91], v[202:203], v[72:75]// 0000000041BC: D3F30048 0D23955A
	buffer_load_dwordx4 a[20:23], v33, s[24:27], 0 offen offset:1024// 0000000041C4: E05C1400 80861421
	v_mfma_f32_16x16x32_fp8_fp8 v[72:75], a[92:93], v[204:205], v[72:75]// 0000000041CC: D3F30048 0D23995C
	v_mfma_f32_16x16x32_fp8_fp8 v[72:75], a[94:95], v[206:207], v[72:75]// 0000000041D4: D3F30048 0D239D5E
	v_mfma_f32_16x16x32_fp8_fp8 v[76:79], a[80:81], v[208:209], v[76:79]// 0000000041DC: D3F3004C 0D33A150
	v_mfma_f32_16x16x32_fp8_fp8 v[76:79], a[82:83], v[210:211], v[76:79]// 0000000041E4: D3F3004C 0D33A552
	buffer_load_dwordx4 a[24:27], v33, s[24:27], 0 offen offset:2048// 0000000041EC: E05C1800 80861821
	v_mfma_f32_16x16x32_fp8_fp8 v[76:79], a[84:85], v[212:213], v[76:79]// 0000000041F4: D3F3004C 0D33A954
	v_mfma_f32_16x16x32_fp8_fp8 v[76:79], a[86:87], v[214:215], v[76:79]// 0000000041FC: D3F3004C 0D33AD56
	v_mfma_f32_16x16x32_fp8_fp8 v[76:79], a[88:89], v[216:217], v[76:79]// 000000004204: D3F3004C 0D33B158
	v_mfma_f32_16x16x32_fp8_fp8 v[76:79], a[90:91], v[218:219], v[76:79]// 00000000420C: D3F3004C 0D33B55A
	buffer_load_dwordx4 a[28:31], v33, s[24:27], 0 offen offset:3072// 000000004214: E05C1C00 80861C21
	v_mfma_f32_16x16x32_fp8_fp8 v[76:79], a[92:93], v[220:221], v[76:79]// 00000000421C: D3F3004C 0D33B95C
	v_mfma_f32_16x16x32_fp8_fp8 v[76:79], a[94:95], v[222:223], v[76:79]// 000000004224: D3F3004C 0D33BD5E
	s_waitcnt vmcnt(12)                                        // 00000000422C: BF8C0F7C
	v_mfma_f32_16x16x32_fp8_fp8 v[80:83], a[96:97], v[192:193], v[80:83]// 000000004230: D3F30050 0D438160
	v_mfma_f32_16x16x32_fp8_fp8 v[80:83], a[98:99], v[194:195], v[80:83]// 000000004238: D3F30050 0D438562
	buffer_load_dwordx4 a[32:35], v34, s[24:27], 0 offen       // 000000004240: E05C1000 80862022
	v_mfma_f32_16x16x32_fp8_fp8 v[80:83], a[100:101], v[196:197], v[80:83]// 000000004248: D3F30050 0D438964
	v_mfma_f32_16x16x32_fp8_fp8 v[80:83], a[102:103], v[198:199], v[80:83]// 000000004250: D3F30050 0D438D66
	ds_read_b128 v[160:163], v2                                // 000000004258: D9FE0000 A0000002
	v_mfma_f32_16x16x32_fp8_fp8 v[80:83], a[104:105], v[200:201], v[80:83]// 000000004260: D3F30050 0D439168
	v_mfma_f32_16x16x32_fp8_fp8 v[80:83], a[106:107], v[202:203], v[80:83]// 000000004268: D3F30050 0D43956A
	buffer_load_dwordx4 a[36:39], v34, s[24:27], 0 offen offset:1024// 000000004270: E05C1400 80862422
	v_mfma_f32_16x16x32_fp8_fp8 v[80:83], a[108:109], v[204:205], v[80:83]// 000000004278: D3F30050 0D43996C
	v_mfma_f32_16x16x32_fp8_fp8 v[80:83], a[110:111], v[206:207], v[80:83]// 000000004280: D3F30050 0D439D6E
	ds_read_b128 v[164:167], v2 offset:64                      // 000000004288: D9FE0040 A4000002
	v_mfma_f32_16x16x32_fp8_fp8 v[84:87], a[96:97], v[208:209], v[84:87]// 000000004290: D3F30054 0D53A160
	v_mfma_f32_16x16x32_fp8_fp8 v[84:87], a[98:99], v[210:211], v[84:87]// 000000004298: D3F30054 0D53A562
	buffer_load_dwordx4 a[40:43], v34, s[24:27], 0 offen offset:2048// 0000000042A0: E05C1800 80862822
	v_mfma_f32_16x16x32_fp8_fp8 v[84:87], a[100:101], v[212:213], v[84:87]// 0000000042A8: D3F30054 0D53A964
	v_mfma_f32_16x16x32_fp8_fp8 v[84:87], a[102:103], v[214:215], v[84:87]// 0000000042B0: D3F30054 0D53AD66
	ds_read_b128 v[168:171], v2 offset:128                     // 0000000042B8: D9FE0080 A8000002
	v_mfma_f32_16x16x32_fp8_fp8 v[84:87], a[104:105], v[216:217], v[84:87]// 0000000042C0: D3F30054 0D53B168
	v_mfma_f32_16x16x32_fp8_fp8 v[84:87], a[106:107], v[218:219], v[84:87]// 0000000042C8: D3F30054 0D53B56A
	buffer_load_dwordx4 a[44:47], v34, s[24:27], 0 offen offset:3072// 0000000042D0: E05C1C00 80862C22
	v_mfma_f32_16x16x32_fp8_fp8 v[84:87], a[108:109], v[220:221], v[84:87]// 0000000042D8: D3F30054 0D53B96C
	v_mfma_f32_16x16x32_fp8_fp8 v[84:87], a[110:111], v[222:223], v[84:87]// 0000000042E0: D3F30054 0D53BD6E
	ds_read_b128 v[172:175], v2 offset:192                     // 0000000042E8: D9FE00C0 AC000002
	s_waitcnt vmcnt(12)                                        // 0000000042F0: BF8C0F7C
	v_mfma_f32_16x16x32_fp8_fp8 v[88:91], a[112:113], v[192:193], v[88:91]// 0000000042F4: D3F30058 0D638170
	v_mfma_f32_16x16x32_fp8_fp8 v[88:91], a[114:115], v[194:195], v[88:91]// 0000000042FC: D3F30058 0D638572
	buffer_load_dwordx4 a[48:51], v35, s[24:27], 0 offen       // 000000004304: E05C1000 80863023
	v_mfma_f32_16x16x32_fp8_fp8 v[88:91], a[116:117], v[196:197], v[88:91]// 00000000430C: D3F30058 0D638974
	v_mfma_f32_16x16x32_fp8_fp8 v[88:91], a[118:119], v[198:199], v[88:91]// 000000004314: D3F30058 0D638D76
	ds_read_b128 v[176:179], v2 offset:1024                    // 00000000431C: D9FE0400 B0000002
	v_mfma_f32_16x16x32_fp8_fp8 v[88:91], a[120:121], v[200:201], v[88:91]// 000000004324: D3F30058 0D639178
	v_mfma_f32_16x16x32_fp8_fp8 v[88:91], a[122:123], v[202:203], v[88:91]// 00000000432C: D3F30058 0D63957A
	buffer_load_dwordx4 a[52:55], v35, s[24:27], 0 offen offset:1024// 000000004334: E05C1400 80863423
	v_mfma_f32_16x16x32_fp8_fp8 v[88:91], a[124:125], v[204:205], v[88:91]// 00000000433C: D3F30058 0D63997C
	v_mfma_f32_16x16x32_fp8_fp8 v[88:91], a[126:127], v[206:207], v[88:91]// 000000004344: D3F30058 0D639D7E
	ds_read_b128 v[180:183], v2 offset:1088                    // 00000000434C: D9FE0440 B4000002
	v_mfma_f32_16x16x32_fp8_fp8 v[92:95], a[112:113], v[208:209], v[92:95]// 000000004354: D3F3005C 0D73A170
	v_mfma_f32_16x16x32_fp8_fp8 v[92:95], a[114:115], v[210:211], v[92:95]// 00000000435C: D3F3005C 0D73A572
	buffer_load_dwordx4 a[56:59], v35, s[24:27], 0 offen offset:2048// 000000004364: E05C1800 80863823
	v_mfma_f32_16x16x32_fp8_fp8 v[92:95], a[116:117], v[212:213], v[92:95]// 00000000436C: D3F3005C 0D73A974
	v_mfma_f32_16x16x32_fp8_fp8 v[92:95], a[118:119], v[214:215], v[92:95]// 000000004374: D3F3005C 0D73AD76
	ds_read_b128 v[184:187], v2 offset:1152                    // 00000000437C: D9FE0480 B8000002
	v_mfma_f32_16x16x32_fp8_fp8 v[92:95], a[120:121], v[216:217], v[92:95]// 000000004384: D3F3005C 0D73B178
	v_mfma_f32_16x16x32_fp8_fp8 v[92:95], a[122:123], v[218:219], v[92:95]// 00000000438C: D3F3005C 0D73B57A
	buffer_load_dwordx4 a[60:63], v35, s[24:27], 0 offen offset:3072// 000000004394: E05C1C00 80863C23
	v_mfma_f32_16x16x32_fp8_fp8 v[92:95], a[124:125], v[220:221], v[92:95]// 00000000439C: D3F3005C 0D73B97C
	v_mfma_f32_16x16x32_fp8_fp8 v[92:95], a[126:127], v[222:223], v[92:95]// 0000000043A4: D3F3005C 0D73BD7E
	ds_read_b128 v[188:191], v2 offset:1216                    // 0000000043AC: D9FE04C0 BC000002
	s_add_u32 s60, 0x200, s80                                  // 0000000043B4: 803C50FF 00000200
	s_cmp_lt_u32 s60, s81                                      // 0000000043BC: BF0A513C
	s_cselect_b32 s57, s57, 0                                  // 0000000043C0: 85398039
	s_add_u32 s60, 0x200, s80                                  // 0000000043C4: 803C50FF 00000200
	s_cmp_lt_u32 s60, s81                                      // 0000000043CC: BF0A513C
	s_cselect_b32 s58, s58, 0                                  // 0000000043D0: 853A803A
	s_add_u32 s20, s57, s20                                    // 0000000043D4: 80141439
	s_addc_u32 s21, 0, s21                                     // 0000000043D8: 82151580
	s_add_u32 s24, s58, s24                                    // 0000000043DC: 8018183A
	s_addc_u32 s25, 0, s25                                     // 0000000043E0: 82191980
	s_add_u32 s92, s90, s92                                    // 0000000043E4: 805C5C5A
	s_addc_u32 s93, 0, s93                                     // 0000000043E8: 825D5D80
	s_addk_i32 s80, 0x100                                      // 0000000043EC: B7500100
	s_cmp_lt_i32 s80, s81                                      // 0000000043F0: BF045150
	s_cbranch_scc0 label_057F                                  // 0000000043F4: BF840001
	s_branch label_026E                                        // 0000000043F8: BF82FCEF

00000000000043fc <label_057F>:
	s_mov_b32 s36, -1                                          // 0000000043FC: BEA400C1
	s_mov_b32 s37, -1                                          // 000000004400: BEA500C1
	s_mov_b64 s[60:61], 0                                      // 000000004404: BEBC0180
	s_cmp_lt_u32 s82, s66                                      // 000000004408: BF0A4252
	s_cselect_b64 s[20:21], s[36:37], s[60:61]                 // 00000000440C: 85943C24
	s_cmp_lt_u32 s83, s66                                      // 000000004410: BF0A4253
	s_cselect_b64 s[22:23], s[36:37], s[60:61]                 // 000000004414: 85963C24
	s_cmp_lt_u32 s84, s66                                      // 000000004418: BF0A4254
	s_cselect_b64 s[24:25], s[36:37], s[60:61]                 // 00000000441C: 85983C24
	s_cmp_lt_u32 s85, s66                                      // 000000004420: BF0A4255
	s_cselect_b64 s[26:27], s[36:37], s[60:61]                 // 000000004424: 859A3C24
	s_cmp_lt_u32 s86, s66                                      // 000000004428: BF0A4256
	s_cselect_b64 s[28:29], s[36:37], s[60:61]                 // 00000000442C: 859C3C24
	s_cmp_lt_u32 s87, s66                                      // 000000004430: BF0A4257
	s_cselect_b64 s[30:31], s[36:37], s[60:61]                 // 000000004434: 859E3C24
	s_cmp_lt_u32 s88, s66                                      // 000000004438: BF0A4258
	s_cselect_b64 s[32:33], s[36:37], s[60:61]                 // 00000000443C: 85A03C24
	s_cmp_lt_u32 s89, s66                                      // 000000004440: BF0A4259
	s_cselect_b64 s[34:35], s[36:37], s[60:61]                 // 000000004444: 85A23C24
	v_mul_f32_e32 v128, v13, v128                              // 000000004448: 0B01010D
	v_mul_f32_e32 v129, v13, v129                              // 00000000444C: 0B03030D
	v_mul_f32_e32 v130, v13, v130                              // 000000004450: 0B05050D
	v_mul_f32_e32 v131, v13, v131                              // 000000004454: 0B07070D
	v_mul_f32_dpp v128, v15, v128 row_newbcast:0 row_mask:0xf bank_mask:0xf// 000000004458: 0B0100FA FF01500F
	v_mul_f32_dpp v129, v15, v129 row_newbcast:1 row_mask:0xf bank_mask:0xf// 000000004460: 0B0302FA FF01510F
	v_mul_f32_dpp v130, v15, v130 row_newbcast:2 row_mask:0xf bank_mask:0xf// 000000004468: 0B0504FA FF01520F
	v_mul_f32_dpp v131, v15, v131 row_newbcast:3 row_mask:0xf bank_mask:0xf// 000000004470: 0B0706FA FF01530F
	v_mul_f32_e32 v132, v14, v132                              // 000000004478: 0B09090E
	v_mul_f32_e32 v133, v14, v133                              // 00000000447C: 0B0B0B0E
	v_mul_f32_e32 v134, v14, v134                              // 000000004480: 0B0D0D0E
	v_mul_f32_e32 v135, v14, v135                              // 000000004484: 0B0F0F0E
	v_mul_f32_dpp v132, v15, v132 row_newbcast:0 row_mask:0xf bank_mask:0xf// 000000004488: 0B0908FA FF01500F
	v_mul_f32_dpp v133, v15, v133 row_newbcast:1 row_mask:0xf bank_mask:0xf// 000000004490: 0B0B0AFA FF01510F
	v_mul_f32_dpp v134, v15, v134 row_newbcast:2 row_mask:0xf bank_mask:0xf// 000000004498: 0B0D0CFA FF01520F
	v_mul_f32_dpp v135, v15, v135 row_newbcast:3 row_mask:0xf bank_mask:0xf// 0000000044A0: 0B0F0EFA FF01530F
	v_mul_f32_e32 v136, v13, v136                              // 0000000044A8: 0B11110D
	v_mul_f32_e32 v137, v13, v137                              // 0000000044AC: 0B13130D
	v_mul_f32_e32 v138, v13, v138                              // 0000000044B0: 0B15150D
	v_mul_f32_e32 v139, v13, v139                              // 0000000044B4: 0B17170D
	v_mul_f32_dpp v136, v15, v136 row_newbcast:4 row_mask:0xf bank_mask:0xf// 0000000044B8: 0B1110FA FF01540F
	v_mul_f32_dpp v137, v15, v137 row_newbcast:5 row_mask:0xf bank_mask:0xf// 0000000044C0: 0B1312FA FF01550F
	v_mul_f32_dpp v138, v15, v138 row_newbcast:6 row_mask:0xf bank_mask:0xf// 0000000044C8: 0B1514FA FF01560F
	v_mul_f32_dpp v139, v15, v139 row_newbcast:7 row_mask:0xf bank_mask:0xf// 0000000044D0: 0B1716FA FF01570F
	v_mul_f32_e32 v140, v14, v140                              // 0000000044D8: 0B19190E
	v_mul_f32_e32 v141, v14, v141                              // 0000000044DC: 0B1B1B0E
	v_mul_f32_e32 v142, v14, v142                              // 0000000044E0: 0B1D1D0E
	v_mul_f32_e32 v143, v14, v143                              // 0000000044E4: 0B1F1F0E
	v_mul_f32_dpp v140, v15, v140 row_newbcast:4 row_mask:0xf bank_mask:0xf// 0000000044E8: 0B1918FA FF01540F
	v_mul_f32_dpp v141, v15, v141 row_newbcast:5 row_mask:0xf bank_mask:0xf// 0000000044F0: 0B1B1AFA FF01550F
	v_mul_f32_dpp v142, v15, v142 row_newbcast:6 row_mask:0xf bank_mask:0xf// 0000000044F8: 0B1D1CFA FF01560F
	v_mul_f32_dpp v143, v15, v143 row_newbcast:7 row_mask:0xf bank_mask:0xf// 000000004500: 0B1F1EFA FF01570F
	v_mul_f32_e32 v144, v13, v144                              // 000000004508: 0B21210D
	v_mul_f32_e32 v145, v13, v145                              // 00000000450C: 0B23230D
	v_mul_f32_e32 v146, v13, v146                              // 000000004510: 0B25250D
	v_mul_f32_e32 v147, v13, v147                              // 000000004514: 0B27270D
	v_mul_f32_dpp v144, v15, v144 row_newbcast:8 row_mask:0xf bank_mask:0xf// 000000004518: 0B2120FA FF01580F
	v_mul_f32_dpp v145, v15, v145 row_newbcast:9 row_mask:0xf bank_mask:0xf// 000000004520: 0B2322FA FF01590F
	v_mul_f32_dpp v146, v15, v146 row_newbcast:10 row_mask:0xf bank_mask:0xf// 000000004528: 0B2524FA FF015A0F
	v_mul_f32_dpp v147, v15, v147 row_newbcast:11 row_mask:0xf bank_mask:0xf// 000000004530: 0B2726FA FF015B0F
	v_mul_f32_e32 v148, v14, v148                              // 000000004538: 0B29290E
	v_mul_f32_e32 v149, v14, v149                              // 00000000453C: 0B2B2B0E
	v_mul_f32_e32 v150, v14, v150                              // 000000004540: 0B2D2D0E
	v_mul_f32_e32 v151, v14, v151                              // 000000004544: 0B2F2F0E
	v_mul_f32_dpp v148, v15, v148 row_newbcast:8 row_mask:0xf bank_mask:0xf// 000000004548: 0B2928FA FF01580F
	v_mul_f32_dpp v149, v15, v149 row_newbcast:9 row_mask:0xf bank_mask:0xf// 000000004550: 0B2B2AFA FF01590F
	v_mul_f32_dpp v150, v15, v150 row_newbcast:10 row_mask:0xf bank_mask:0xf// 000000004558: 0B2D2CFA FF015A0F
	v_mul_f32_dpp v151, v15, v151 row_newbcast:11 row_mask:0xf bank_mask:0xf// 000000004560: 0B2F2EFA FF015B0F
	v_mul_f32_e32 v152, v13, v152                              // 000000004568: 0B31310D
	v_mul_f32_e32 v153, v13, v153                              // 00000000456C: 0B33330D
	v_mul_f32_e32 v154, v13, v154                              // 000000004570: 0B35350D
	v_mul_f32_e32 v155, v13, v155                              // 000000004574: 0B37370D
	v_mul_f32_dpp v152, v15, v152 row_newbcast:12 row_mask:0xf bank_mask:0xf// 000000004578: 0B3130FA FF015C0F
	v_mul_f32_dpp v153, v15, v153 row_newbcast:13 row_mask:0xf bank_mask:0xf// 000000004580: 0B3332FA FF015D0F
	v_mul_f32_dpp v154, v15, v154 row_newbcast:14 row_mask:0xf bank_mask:0xf// 000000004588: 0B3534FA FF015E0F
	v_mul_f32_dpp v155, v15, v155 row_newbcast:15 row_mask:0xf bank_mask:0xf// 000000004590: 0B3736FA FF015F0F
	v_mul_f32_e32 v156, v14, v156                              // 000000004598: 0B39390E
	v_mul_f32_e32 v157, v14, v157                              // 00000000459C: 0B3B3B0E
	v_mul_f32_e32 v158, v14, v158                              // 0000000045A0: 0B3D3D0E
	v_mul_f32_e32 v159, v14, v159                              // 0000000045A4: 0B3F3F0E
	v_mul_f32_dpp v156, v15, v156 row_newbcast:12 row_mask:0xf bank_mask:0xf// 0000000045A8: 0B3938FA FF015C0F
	v_mul_f32_dpp v157, v15, v157 row_newbcast:13 row_mask:0xf bank_mask:0xf// 0000000045B0: 0B3B3AFA FF015D0F
	v_mul_f32_dpp v158, v15, v158 row_newbcast:14 row_mask:0xf bank_mask:0xf// 0000000045B8: 0B3D3CFA FF015E0F
	v_mul_f32_dpp v159, v15, v159 row_newbcast:15 row_mask:0xf bank_mask:0xf// 0000000045C0: 0B3F3EFA FF015F0F
	v_mul_f32_e32 v64, v13, v64                                // 0000000045C8: 0A80810D
	v_mul_f32_e32 v65, v13, v65                                // 0000000045CC: 0A82830D
	v_mul_f32_e32 v66, v13, v66                                // 0000000045D0: 0A84850D
	v_mul_f32_e32 v67, v13, v67                                // 0000000045D4: 0A86870D
	v_mul_f32_dpp v64, v44, v64 row_newbcast:0 row_mask:0xf bank_mask:0xf// 0000000045D8: 0A8080FA FF01502C
	v_mul_f32_dpp v65, v44, v65 row_newbcast:1 row_mask:0xf bank_mask:0xf// 0000000045E0: 0A8282FA FF01512C
	v_mul_f32_dpp v66, v44, v66 row_newbcast:2 row_mask:0xf bank_mask:0xf// 0000000045E8: 0A8484FA FF01522C
	v_mul_f32_dpp v67, v44, v67 row_newbcast:3 row_mask:0xf bank_mask:0xf// 0000000045F0: 0A8686FA FF01532C
	v_mul_f32_e32 v68, v14, v68                                // 0000000045F8: 0A88890E
	v_mul_f32_e32 v69, v14, v69                                // 0000000045FC: 0A8A8B0E
	v_mul_f32_e32 v70, v14, v70                                // 000000004600: 0A8C8D0E
	v_mul_f32_e32 v71, v14, v71                                // 000000004604: 0A8E8F0E
	v_mul_f32_dpp v68, v44, v68 row_newbcast:0 row_mask:0xf bank_mask:0xf// 000000004608: 0A8888FA FF01502C
	v_mul_f32_dpp v69, v44, v69 row_newbcast:1 row_mask:0xf bank_mask:0xf// 000000004610: 0A8A8AFA FF01512C
	v_mul_f32_dpp v70, v44, v70 row_newbcast:2 row_mask:0xf bank_mask:0xf// 000000004618: 0A8C8CFA FF01522C
	v_mul_f32_dpp v71, v44, v71 row_newbcast:3 row_mask:0xf bank_mask:0xf// 000000004620: 0A8E8EFA FF01532C
	v_mul_f32_e32 v72, v13, v72                                // 000000004628: 0A90910D
	v_mul_f32_e32 v73, v13, v73                                // 00000000462C: 0A92930D
	v_mul_f32_e32 v74, v13, v74                                // 000000004630: 0A94950D
	v_mul_f32_e32 v75, v13, v75                                // 000000004634: 0A96970D
	v_mul_f32_dpp v72, v44, v72 row_newbcast:4 row_mask:0xf bank_mask:0xf// 000000004638: 0A9090FA FF01542C
	v_mul_f32_dpp v73, v44, v73 row_newbcast:5 row_mask:0xf bank_mask:0xf// 000000004640: 0A9292FA FF01552C
	v_mul_f32_dpp v74, v44, v74 row_newbcast:6 row_mask:0xf bank_mask:0xf// 000000004648: 0A9494FA FF01562C
	v_mul_f32_dpp v75, v44, v75 row_newbcast:7 row_mask:0xf bank_mask:0xf// 000000004650: 0A9696FA FF01572C
	v_mul_f32_e32 v76, v14, v76                                // 000000004658: 0A98990E
	v_mul_f32_e32 v77, v14, v77                                // 00000000465C: 0A9A9B0E
	v_mul_f32_e32 v78, v14, v78                                // 000000004660: 0A9C9D0E
	v_mul_f32_e32 v79, v14, v79                                // 000000004664: 0A9E9F0E
	v_mul_f32_dpp v76, v44, v76 row_newbcast:4 row_mask:0xf bank_mask:0xf// 000000004668: 0A9898FA FF01542C
	v_mul_f32_dpp v77, v44, v77 row_newbcast:5 row_mask:0xf bank_mask:0xf// 000000004670: 0A9A9AFA FF01552C
	v_mul_f32_dpp v78, v44, v78 row_newbcast:6 row_mask:0xf bank_mask:0xf// 000000004678: 0A9C9CFA FF01562C
	v_mul_f32_dpp v79, v44, v79 row_newbcast:7 row_mask:0xf bank_mask:0xf// 000000004680: 0A9E9EFA FF01572C
	v_mul_f32_e32 v80, v13, v80                                // 000000004688: 0AA0A10D
	v_mul_f32_e32 v81, v13, v81                                // 00000000468C: 0AA2A30D
	v_mul_f32_e32 v82, v13, v82                                // 000000004690: 0AA4A50D
	v_mul_f32_e32 v83, v13, v83                                // 000000004694: 0AA6A70D
	v_mul_f32_dpp v80, v44, v80 row_newbcast:8 row_mask:0xf bank_mask:0xf// 000000004698: 0AA0A0FA FF01582C
	v_mul_f32_dpp v81, v44, v81 row_newbcast:9 row_mask:0xf bank_mask:0xf// 0000000046A0: 0AA2A2FA FF01592C
	v_mul_f32_dpp v82, v44, v82 row_newbcast:10 row_mask:0xf bank_mask:0xf// 0000000046A8: 0AA4A4FA FF015A2C
	v_mul_f32_dpp v83, v44, v83 row_newbcast:11 row_mask:0xf bank_mask:0xf// 0000000046B0: 0AA6A6FA FF015B2C
	v_mul_f32_e32 v84, v14, v84                                // 0000000046B8: 0AA8A90E
	v_mul_f32_e32 v85, v14, v85                                // 0000000046BC: 0AAAAB0E
	v_mul_f32_e32 v86, v14, v86                                // 0000000046C0: 0AACAD0E
	v_mul_f32_e32 v87, v14, v87                                // 0000000046C4: 0AAEAF0E
	v_mul_f32_dpp v84, v44, v84 row_newbcast:8 row_mask:0xf bank_mask:0xf// 0000000046C8: 0AA8A8FA FF01582C
	v_mul_f32_dpp v85, v44, v85 row_newbcast:9 row_mask:0xf bank_mask:0xf// 0000000046D0: 0AAAAAFA FF01592C
	v_mul_f32_dpp v86, v44, v86 row_newbcast:10 row_mask:0xf bank_mask:0xf// 0000000046D8: 0AACACFA FF015A2C
	v_mul_f32_dpp v87, v44, v87 row_newbcast:11 row_mask:0xf bank_mask:0xf// 0000000046E0: 0AAEAEFA FF015B2C
	v_mul_f32_e32 v88, v13, v88                                // 0000000046E8: 0AB0B10D
	v_mul_f32_e32 v89, v13, v89                                // 0000000046EC: 0AB2B30D
	v_mul_f32_e32 v90, v13, v90                                // 0000000046F0: 0AB4B50D
	v_mul_f32_e32 v91, v13, v91                                // 0000000046F4: 0AB6B70D
	v_mul_f32_dpp v88, v44, v88 row_newbcast:12 row_mask:0xf bank_mask:0xf// 0000000046F8: 0AB0B0FA FF015C2C
	v_mul_f32_dpp v89, v44, v89 row_newbcast:13 row_mask:0xf bank_mask:0xf// 000000004700: 0AB2B2FA FF015D2C
	v_mul_f32_dpp v90, v44, v90 row_newbcast:14 row_mask:0xf bank_mask:0xf// 000000004708: 0AB4B4FA FF015E2C
	v_mul_f32_dpp v91, v44, v91 row_newbcast:15 row_mask:0xf bank_mask:0xf// 000000004710: 0AB6B6FA FF015F2C
	v_mul_f32_e32 v92, v14, v92                                // 000000004718: 0AB8B90E
	v_mul_f32_e32 v93, v14, v93                                // 00000000471C: 0ABABB0E
	v_mul_f32_e32 v94, v14, v94                                // 000000004720: 0ABCBD0E
	v_mul_f32_e32 v95, v14, v95                                // 000000004724: 0ABEBF0E
	v_mul_f32_dpp v92, v44, v92 row_newbcast:12 row_mask:0xf bank_mask:0xf// 000000004728: 0AB8B8FA FF015C2C
	v_mul_f32_dpp v93, v44, v93 row_newbcast:13 row_mask:0xf bank_mask:0xf// 000000004730: 0ABABAFA FF015D2C
	v_mul_f32_dpp v94, v44, v94 row_newbcast:14 row_mask:0xf bank_mask:0xf// 000000004738: 0ABCBCFA FF015E2C
	v_mul_f32_dpp v95, v44, v95 row_newbcast:15 row_mask:0xf bank_mask:0xf// 000000004740: 0ABEBEFA FF015F2C
	s_waitcnt vmcnt(12)                                        // 000000004748: BF8C0F7C
	buffer_load_dwordx4 a[0:3], v36, s[12:15], 0 offen         // 00000000474C: E05C1000 80830024
	v_mul_f32_e64 v46, -v128, s6                               // 000000004754: D105002E 20000D80
	v_mul_f32_e64 v47, -v129, s6                               // 00000000475C: D105002F 20000D81
	v_mul_f32_e64 v48, -v130, s6                               // 000000004764: D1050030 20000D82
	v_mul_f32_e64 v49, -v131, s6                               // 00000000476C: D1050031 20000D83
	v_exp_f32_e32 v46, v46                                     // 000000004774: 7E5C412E
	v_exp_f32_e32 v47, v47                                     // 000000004778: 7E5E412F
	v_exp_f32_e32 v48, v48                                     // 00000000477C: 7E604130
	v_exp_f32_e32 v49, v49                                     // 000000004780: 7E624131
	buffer_load_dwordx4 a[4:7], v37, s[12:15], 0 offen         // 000000004784: E05C1000 80830425
	v_add_f32_e64 v46, v46, 1.0                                // 00000000478C: D101002E 0001E52E
	v_add_f32_e64 v47, v47, 1.0                                // 000000004794: D101002F 0001E52F
	v_add_f32_e64 v48, v48, 1.0                                // 00000000479C: D1010030 0001E530
	v_add_f32_e64 v49, v49, 1.0                                // 0000000047A4: D1010031 0001E531
	v_rcp_f32_e32 v46, v46                                     // 0000000047AC: 7E5C452E
	v_rcp_f32_e32 v47, v47                                     // 0000000047B0: 7E5E452F
	v_rcp_f32_e32 v48, v48                                     // 0000000047B4: 7E604530
	v_rcp_f32_e32 v49, v49                                     // 0000000047B8: 7E624531
	v_mul_f32_e32 v128, v128, v46                              // 0000000047BC: 0B005D80
	v_mul_f32_e32 v129, v129, v47                              // 0000000047C0: 0B025F81
	v_mul_f32_e32 v130, v130, v48                              // 0000000047C4: 0B046182
	v_mul_f32_e32 v131, v131, v49                              // 0000000047C8: 0B066383
	v_mul_f32_e32 v128, v128, v64                              // 0000000047CC: 0B008180
	v_mul_f32_e32 v129, v129, v65                              // 0000000047D0: 0B028381
	v_mul_f32_e32 v130, v130, v66                              // 0000000047D4: 0B048582
	v_mul_f32_e32 v131, v131, v67                              // 0000000047D8: 0B068783
	buffer_load_dwordx4 a[8:11], v38, s[12:15], 0 offen        // 0000000047DC: E05C1000 80830826
	v_mul_f32_e64 v46, -v132, s6                               // 0000000047E4: D105002E 20000D84
	v_mul_f32_e64 v47, -v133, s6                               // 0000000047EC: D105002F 20000D85
	v_mul_f32_e64 v48, -v134, s6                               // 0000000047F4: D1050030 20000D86
	v_mul_f32_e64 v49, -v135, s6                               // 0000000047FC: D1050031 20000D87
	v_exp_f32_e32 v46, v46                                     // 000000004804: 7E5C412E
	v_exp_f32_e32 v47, v47                                     // 000000004808: 7E5E412F
	v_exp_f32_e32 v48, v48                                     // 00000000480C: 7E604130
	v_exp_f32_e32 v49, v49                                     // 000000004810: 7E624131
	buffer_load_dwordx4 a[12:15], v39, s[12:15], 0 offen       // 000000004814: E05C1000 80830C27
	s_add_u32 s12, s78, s12                                    // 00000000481C: 800C0C4E
	s_addc_u32 s13, 0, s13                                     // 000000004820: 820D0D80
	v_add_f32_e64 v46, v46, 1.0                                // 000000004824: D101002E 0001E52E
	v_add_f32_e64 v47, v47, 1.0                                // 00000000482C: D101002F 0001E52F
	v_add_f32_e64 v48, v48, 1.0                                // 000000004834: D1010030 0001E530
	v_add_f32_e64 v49, v49, 1.0                                // 00000000483C: D1010031 0001E531
	v_rcp_f32_e32 v46, v46                                     // 000000004844: 7E5C452E
	v_rcp_f32_e32 v47, v47                                     // 000000004848: 7E5E452F
	v_rcp_f32_e32 v48, v48                                     // 00000000484C: 7E604530
	v_rcp_f32_e32 v49, v49                                     // 000000004850: 7E624531
	v_mul_f32_e32 v132, v132, v46                              // 000000004854: 0B085D84
	v_mul_f32_e32 v133, v133, v47                              // 000000004858: 0B0A5F85
	v_mul_f32_e32 v134, v134, v48                              // 00000000485C: 0B0C6186
	v_mul_f32_e32 v135, v135, v49                              // 000000004860: 0B0E6387
	v_mul_f32_e32 v132, v132, v68                              // 000000004864: 0B088984
	v_mul_f32_e32 v133, v133, v69                              // 000000004868: 0B0A8B85
	v_mul_f32_e32 v134, v134, v70                              // 00000000486C: 0B0C8D86
	v_mul_f32_e32 v135, v135, v71                              // 000000004870: 0B0E8F87
	s_waitcnt vmcnt(12)                                        // 000000004874: BF8C0F7C
	buffer_load_dwordx4 a[16:19], v36, s[12:15], 0 offen       // 000000004878: E05C1000 80831024
	v_mul_f32_e64 v46, -v136, s6                               // 000000004880: D105002E 20000D88
	v_mul_f32_e64 v47, -v137, s6                               // 000000004888: D105002F 20000D89
	v_mul_f32_e64 v48, -v138, s6                               // 000000004890: D1050030 20000D8A
	v_mul_f32_e64 v49, -v139, s6                               // 000000004898: D1050031 20000D8B
	v_exp_f32_e32 v46, v46                                     // 0000000048A0: 7E5C412E
	v_exp_f32_e32 v47, v47                                     // 0000000048A4: 7E5E412F
	v_exp_f32_e32 v48, v48                                     // 0000000048A8: 7E604130
	v_exp_f32_e32 v49, v49                                     // 0000000048AC: 7E624131
	buffer_load_dwordx4 a[20:23], v37, s[12:15], 0 offen       // 0000000048B0: E05C1000 80831425
	v_add_f32_e64 v46, v46, 1.0                                // 0000000048B8: D101002E 0001E52E
	v_add_f32_e64 v47, v47, 1.0                                // 0000000048C0: D101002F 0001E52F
	v_add_f32_e64 v48, v48, 1.0                                // 0000000048C8: D1010030 0001E530
	v_add_f32_e64 v49, v49, 1.0                                // 0000000048D0: D1010031 0001E531
	v_rcp_f32_e32 v46, v46                                     // 0000000048D8: 7E5C452E
	v_rcp_f32_e32 v47, v47                                     // 0000000048DC: 7E5E452F
	v_rcp_f32_e32 v48, v48                                     // 0000000048E0: 7E604530
	v_rcp_f32_e32 v49, v49                                     // 0000000048E4: 7E624531
	v_mul_f32_e32 v136, v136, v46                              // 0000000048E8: 0B105D88
	v_mul_f32_e32 v137, v137, v47                              // 0000000048EC: 0B125F89
	v_mul_f32_e32 v138, v138, v48                              // 0000000048F0: 0B14618A
	v_mul_f32_e32 v139, v139, v49                              // 0000000048F4: 0B16638B
	v_mul_f32_e32 v136, v136, v72                              // 0000000048F8: 0B109188
	v_mul_f32_e32 v137, v137, v73                              // 0000000048FC: 0B129389
	v_mul_f32_e32 v138, v138, v74                              // 000000004900: 0B14958A
	v_mul_f32_e32 v139, v139, v75                              // 000000004904: 0B16978B
	buffer_load_dwordx4 a[24:27], v38, s[12:15], 0 offen       // 000000004908: E05C1000 80831826
	v_mul_f32_e64 v46, -v140, s6                               // 000000004910: D105002E 20000D8C
	v_mul_f32_e64 v47, -v141, s6                               // 000000004918: D105002F 20000D8D
	v_mul_f32_e64 v48, -v142, s6                               // 000000004920: D1050030 20000D8E
	v_mul_f32_e64 v49, -v143, s6                               // 000000004928: D1050031 20000D8F
	v_exp_f32_e32 v46, v46                                     // 000000004930: 7E5C412E
	v_exp_f32_e32 v47, v47                                     // 000000004934: 7E5E412F
	v_exp_f32_e32 v48, v48                                     // 000000004938: 7E604130
	v_exp_f32_e32 v49, v49                                     // 00000000493C: 7E624131
	buffer_load_dwordx4 a[28:31], v39, s[12:15], 0 offen       // 000000004940: E05C1000 80831C27
	s_add_u32 s12, s78, s12                                    // 000000004948: 800C0C4E
	s_addc_u32 s13, 0, s13                                     // 00000000494C: 820D0D80
	v_add_f32_e64 v46, v46, 1.0                                // 000000004950: D101002E 0001E52E
	v_add_f32_e64 v47, v47, 1.0                                // 000000004958: D101002F 0001E52F
	v_add_f32_e64 v48, v48, 1.0                                // 000000004960: D1010030 0001E530
	v_add_f32_e64 v49, v49, 1.0                                // 000000004968: D1010031 0001E531
	v_rcp_f32_e32 v46, v46                                     // 000000004970: 7E5C452E
	v_rcp_f32_e32 v47, v47                                     // 000000004974: 7E5E452F
	v_rcp_f32_e32 v48, v48                                     // 000000004978: 7E604530
	v_rcp_f32_e32 v49, v49                                     // 00000000497C: 7E624531
	v_mul_f32_e32 v140, v140, v46                              // 000000004980: 0B185D8C
	v_mul_f32_e32 v141, v141, v47                              // 000000004984: 0B1A5F8D
	v_mul_f32_e32 v142, v142, v48                              // 000000004988: 0B1C618E
	v_mul_f32_e32 v143, v143, v49                              // 00000000498C: 0B1E638F
	v_mul_f32_e32 v140, v140, v76                              // 000000004990: 0B18998C
	v_mul_f32_e32 v141, v141, v77                              // 000000004994: 0B1A9B8D
	v_mul_f32_e32 v142, v142, v78                              // 000000004998: 0B1C9D8E
	v_mul_f32_e32 v143, v143, v79                              // 00000000499C: 0B1E9F8F
	s_waitcnt vmcnt(12)                                        // 0000000049A0: BF8C0F7C
	buffer_load_dwordx4 a[32:35], v36, s[12:15], 0 offen       // 0000000049A4: E05C1000 80832024
	v_mul_f32_e64 v46, -v144, s6                               // 0000000049AC: D105002E 20000D90
	v_mul_f32_e64 v47, -v145, s6                               // 0000000049B4: D105002F 20000D91
	v_mul_f32_e64 v48, -v146, s6                               // 0000000049BC: D1050030 20000D92
	v_mul_f32_e64 v49, -v147, s6                               // 0000000049C4: D1050031 20000D93
	v_exp_f32_e32 v46, v46                                     // 0000000049CC: 7E5C412E
	v_exp_f32_e32 v47, v47                                     // 0000000049D0: 7E5E412F
	v_exp_f32_e32 v48, v48                                     // 0000000049D4: 7E604130
	v_exp_f32_e32 v49, v49                                     // 0000000049D8: 7E624131
	buffer_load_dwordx4 a[36:39], v37, s[12:15], 0 offen       // 0000000049DC: E05C1000 80832425
	v_add_f32_e64 v46, v46, 1.0                                // 0000000049E4: D101002E 0001E52E
	v_add_f32_e64 v47, v47, 1.0                                // 0000000049EC: D101002F 0001E52F
	v_add_f32_e64 v48, v48, 1.0                                // 0000000049F4: D1010030 0001E530
	v_add_f32_e64 v49, v49, 1.0                                // 0000000049FC: D1010031 0001E531
	v_rcp_f32_e32 v46, v46                                     // 000000004A04: 7E5C452E
	v_rcp_f32_e32 v47, v47                                     // 000000004A08: 7E5E452F
	v_rcp_f32_e32 v48, v48                                     // 000000004A0C: 7E604530
	v_rcp_f32_e32 v49, v49                                     // 000000004A10: 7E624531
	v_mul_f32_e32 v144, v144, v46                              // 000000004A14: 0B205D90
	v_mul_f32_e32 v145, v145, v47                              // 000000004A18: 0B225F91
	v_mul_f32_e32 v146, v146, v48                              // 000000004A1C: 0B246192
	v_mul_f32_e32 v147, v147, v49                              // 000000004A20: 0B266393
	v_mul_f32_e32 v144, v144, v80                              // 000000004A24: 0B20A190
	v_mul_f32_e32 v145, v145, v81                              // 000000004A28: 0B22A391
	v_mul_f32_e32 v146, v146, v82                              // 000000004A2C: 0B24A592
	v_mul_f32_e32 v147, v147, v83                              // 000000004A30: 0B26A793
	buffer_load_dwordx4 a[40:43], v38, s[12:15], 0 offen       // 000000004A34: E05C1000 80832826
	v_mul_f32_e64 v46, -v148, s6                               // 000000004A3C: D105002E 20000D94
	v_mul_f32_e64 v47, -v149, s6                               // 000000004A44: D105002F 20000D95
	v_mul_f32_e64 v48, -v150, s6                               // 000000004A4C: D1050030 20000D96
	v_mul_f32_e64 v49, -v151, s6                               // 000000004A54: D1050031 20000D97
	v_exp_f32_e32 v46, v46                                     // 000000004A5C: 7E5C412E
	v_exp_f32_e32 v47, v47                                     // 000000004A60: 7E5E412F
	v_exp_f32_e32 v48, v48                                     // 000000004A64: 7E604130
	v_exp_f32_e32 v49, v49                                     // 000000004A68: 7E624131
	buffer_load_dwordx4 a[44:47], v39, s[12:15], 0 offen       // 000000004A6C: E05C1000 80832C27
	s_add_u32 s12, s78, s12                                    // 000000004A74: 800C0C4E
	s_addc_u32 s13, 0, s13                                     // 000000004A78: 820D0D80
	v_add_f32_e64 v46, v46, 1.0                                // 000000004A7C: D101002E 0001E52E
	v_add_f32_e64 v47, v47, 1.0                                // 000000004A84: D101002F 0001E52F
	v_add_f32_e64 v48, v48, 1.0                                // 000000004A8C: D1010030 0001E530
	v_add_f32_e64 v49, v49, 1.0                                // 000000004A94: D1010031 0001E531
	v_rcp_f32_e32 v46, v46                                     // 000000004A9C: 7E5C452E
	v_rcp_f32_e32 v47, v47                                     // 000000004AA0: 7E5E452F
	v_rcp_f32_e32 v48, v48                                     // 000000004AA4: 7E604530
	v_rcp_f32_e32 v49, v49                                     // 000000004AA8: 7E624531
	v_mul_f32_e32 v148, v148, v46                              // 000000004AAC: 0B285D94
	v_mul_f32_e32 v149, v149, v47                              // 000000004AB0: 0B2A5F95
	v_mul_f32_e32 v150, v150, v48                              // 000000004AB4: 0B2C6196
	v_mul_f32_e32 v151, v151, v49                              // 000000004AB8: 0B2E6397
	v_mul_f32_e32 v148, v148, v84                              // 000000004ABC: 0B28A994
	v_mul_f32_e32 v149, v149, v85                              // 000000004AC0: 0B2AAB95
	v_mul_f32_e32 v150, v150, v86                              // 000000004AC4: 0B2CAD96
	v_mul_f32_e32 v151, v151, v87                              // 000000004AC8: 0B2EAF97
	s_waitcnt vmcnt(12)                                        // 000000004ACC: BF8C0F7C
	buffer_load_dwordx4 a[48:51], v36, s[12:15], 0 offen       // 000000004AD0: E05C1000 80833024
	v_mul_f32_e64 v46, -v152, s6                               // 000000004AD8: D105002E 20000D98
	v_mul_f32_e64 v47, -v153, s6                               // 000000004AE0: D105002F 20000D99
	v_mul_f32_e64 v48, -v154, s6                               // 000000004AE8: D1050030 20000D9A
	v_mul_f32_e64 v49, -v155, s6                               // 000000004AF0: D1050031 20000D9B
	v_exp_f32_e32 v46, v46                                     // 000000004AF8: 7E5C412E
	v_exp_f32_e32 v47, v47                                     // 000000004AFC: 7E5E412F
	v_exp_f32_e32 v48, v48                                     // 000000004B00: 7E604130
	v_exp_f32_e32 v49, v49                                     // 000000004B04: 7E624131
	buffer_load_dwordx4 a[52:55], v37, s[12:15], 0 offen       // 000000004B08: E05C1000 80833425
	v_add_f32_e64 v46, v46, 1.0                                // 000000004B10: D101002E 0001E52E
	v_add_f32_e64 v47, v47, 1.0                                // 000000004B18: D101002F 0001E52F
	v_add_f32_e64 v48, v48, 1.0                                // 000000004B20: D1010030 0001E530
	v_add_f32_e64 v49, v49, 1.0                                // 000000004B28: D1010031 0001E531
	v_rcp_f32_e32 v46, v46                                     // 000000004B30: 7E5C452E
	v_rcp_f32_e32 v47, v47                                     // 000000004B34: 7E5E452F
	v_rcp_f32_e32 v48, v48                                     // 000000004B38: 7E604530
	v_rcp_f32_e32 v49, v49                                     // 000000004B3C: 7E624531
	v_mul_f32_e32 v152, v152, v46                              // 000000004B40: 0B305D98
	v_mul_f32_e32 v153, v153, v47                              // 000000004B44: 0B325F99
	v_mul_f32_e32 v154, v154, v48                              // 000000004B48: 0B34619A
	v_mul_f32_e32 v155, v155, v49                              // 000000004B4C: 0B36639B
	v_mul_f32_e32 v152, v152, v88                              // 000000004B50: 0B30B198
	v_mul_f32_e32 v153, v153, v89                              // 000000004B54: 0B32B399
	v_mul_f32_e32 v154, v154, v90                              // 000000004B58: 0B34B59A
	v_mul_f32_e32 v155, v155, v91                              // 000000004B5C: 0B36B79B
	buffer_load_dwordx4 a[56:59], v38, s[12:15], 0 offen       // 000000004B60: E05C1000 80833826
	v_mul_f32_e64 v46, -v156, s6                               // 000000004B68: D105002E 20000D9C
	v_mul_f32_e64 v47, -v157, s6                               // 000000004B70: D105002F 20000D9D
	v_mul_f32_e64 v48, -v158, s6                               // 000000004B78: D1050030 20000D9E
	v_mul_f32_e64 v49, -v159, s6                               // 000000004B80: D1050031 20000D9F
	v_exp_f32_e32 v46, v46                                     // 000000004B88: 7E5C412E
	v_exp_f32_e32 v47, v47                                     // 000000004B8C: 7E5E412F
	v_exp_f32_e32 v48, v48                                     // 000000004B90: 7E604130
	v_exp_f32_e32 v49, v49                                     // 000000004B94: 7E624131
	buffer_load_dwordx4 a[60:63], v39, s[12:15], 0 offen       // 000000004B98: E05C1000 80833C27
	v_add_f32_e64 v46, v46, 1.0                                // 000000004BA0: D101002E 0001E52E
	v_add_f32_e64 v47, v47, 1.0                                // 000000004BA8: D101002F 0001E52F
	v_add_f32_e64 v48, v48, 1.0                                // 000000004BB0: D1010030 0001E530
	v_add_f32_e64 v49, v49, 1.0                                // 000000004BB8: D1010031 0001E531
	v_rcp_f32_e32 v46, v46                                     // 000000004BC0: 7E5C452E
	v_rcp_f32_e32 v47, v47                                     // 000000004BC4: 7E5E452F
	v_rcp_f32_e32 v48, v48                                     // 000000004BC8: 7E604530
	v_rcp_f32_e32 v49, v49                                     // 000000004BCC: 7E624531
	v_mul_f32_e32 v156, v156, v46                              // 000000004BD0: 0B385D9C
	v_mul_f32_e32 v157, v157, v47                              // 000000004BD4: 0B3A5F9D
	v_mul_f32_e32 v158, v158, v48                              // 000000004BD8: 0B3C619E
	v_mul_f32_e32 v159, v159, v49                              // 000000004BDC: 0B3E639F
	v_mul_f32_e32 v156, v156, v92                              // 000000004BE0: 0B38B99C
	v_mul_f32_e32 v157, v157, v93                              // 000000004BE4: 0B3ABB9D
	v_mul_f32_e32 v158, v158, v94                              // 000000004BE8: 0B3CBD9E
	v_mul_f32_e32 v159, v159, v95                              // 000000004BEC: 0B3EBF9F
	v_mul_f32_dpp v128, v16, v128 row_newbcast:0 row_mask:0xf bank_mask:0xf// 000000004BF0: 0B0100FA FF015010
	v_mul_f32_dpp v129, v16, v129 row_newbcast:1 row_mask:0xf bank_mask:0xf// 000000004BF8: 0B0302FA FF015110
	v_mul_f32_dpp v130, v16, v130 row_newbcast:2 row_mask:0xf bank_mask:0xf// 000000004C00: 0B0504FA FF015210
	v_mul_f32_dpp v131, v16, v131 row_newbcast:3 row_mask:0xf bank_mask:0xf// 000000004C08: 0B0706FA FF015310
	v_mul_f32_dpp v132, v16, v132 row_newbcast:0 row_mask:0xf bank_mask:0xf// 000000004C10: 0B0908FA FF015010
	v_mul_f32_dpp v133, v16, v133 row_newbcast:1 row_mask:0xf bank_mask:0xf// 000000004C18: 0B0B0AFA FF015110
	v_mul_f32_dpp v134, v16, v134 row_newbcast:2 row_mask:0xf bank_mask:0xf// 000000004C20: 0B0D0CFA FF015210
	v_mul_f32_dpp v135, v16, v135 row_newbcast:3 row_mask:0xf bank_mask:0xf// 000000004C28: 0B0F0EFA FF015310
	v_mul_f32_dpp v136, v16, v136 row_newbcast:4 row_mask:0xf bank_mask:0xf// 000000004C30: 0B1110FA FF015410
	v_mul_f32_dpp v137, v16, v137 row_newbcast:5 row_mask:0xf bank_mask:0xf// 000000004C38: 0B1312FA FF015510
	v_mul_f32_dpp v138, v16, v138 row_newbcast:6 row_mask:0xf bank_mask:0xf// 000000004C40: 0B1514FA FF015610
	v_mul_f32_dpp v139, v16, v139 row_newbcast:7 row_mask:0xf bank_mask:0xf// 000000004C48: 0B1716FA FF015710
	v_mul_f32_dpp v140, v16, v140 row_newbcast:4 row_mask:0xf bank_mask:0xf// 000000004C50: 0B1918FA FF015410
	v_mul_f32_dpp v141, v16, v141 row_newbcast:5 row_mask:0xf bank_mask:0xf// 000000004C58: 0B1B1AFA FF015510
	v_mul_f32_dpp v142, v16, v142 row_newbcast:6 row_mask:0xf bank_mask:0xf// 000000004C60: 0B1D1CFA FF015610
	v_mul_f32_dpp v143, v16, v143 row_newbcast:7 row_mask:0xf bank_mask:0xf// 000000004C68: 0B1F1EFA FF015710
	v_mul_f32_dpp v144, v16, v144 row_newbcast:8 row_mask:0xf bank_mask:0xf// 000000004C70: 0B2120FA FF015810
	v_mul_f32_dpp v145, v16, v145 row_newbcast:9 row_mask:0xf bank_mask:0xf// 000000004C78: 0B2322FA FF015910
	v_mul_f32_dpp v146, v16, v146 row_newbcast:10 row_mask:0xf bank_mask:0xf// 000000004C80: 0B2524FA FF015A10
	v_mul_f32_dpp v147, v16, v147 row_newbcast:11 row_mask:0xf bank_mask:0xf// 000000004C88: 0B2726FA FF015B10
	v_mul_f32_dpp v148, v16, v148 row_newbcast:8 row_mask:0xf bank_mask:0xf// 000000004C90: 0B2928FA FF015810
	v_mul_f32_dpp v149, v16, v149 row_newbcast:9 row_mask:0xf bank_mask:0xf// 000000004C98: 0B2B2AFA FF015910
	v_mul_f32_dpp v150, v16, v150 row_newbcast:10 row_mask:0xf bank_mask:0xf// 000000004CA0: 0B2D2CFA FF015A10
	v_mul_f32_dpp v151, v16, v151 row_newbcast:11 row_mask:0xf bank_mask:0xf// 000000004CA8: 0B2F2EFA FF015B10
	v_mul_f32_dpp v152, v16, v152 row_newbcast:12 row_mask:0xf bank_mask:0xf// 000000004CB0: 0B3130FA FF015C10
	v_mul_f32_dpp v153, v16, v153 row_newbcast:13 row_mask:0xf bank_mask:0xf// 000000004CB8: 0B3332FA FF015D10
	v_mul_f32_dpp v154, v16, v154 row_newbcast:14 row_mask:0xf bank_mask:0xf// 000000004CC0: 0B3534FA FF015E10
	v_mul_f32_dpp v155, v16, v155 row_newbcast:15 row_mask:0xf bank_mask:0xf// 000000004CC8: 0B3736FA FF015F10
	v_mul_f32_dpp v156, v16, v156 row_newbcast:12 row_mask:0xf bank_mask:0xf// 000000004CD0: 0B3938FA FF015C10
	v_mul_f32_dpp v157, v16, v157 row_newbcast:13 row_mask:0xf bank_mask:0xf// 000000004CD8: 0B3B3AFA FF015D10
	v_mul_f32_dpp v158, v16, v158 row_newbcast:14 row_mask:0xf bank_mask:0xf// 000000004CE0: 0B3D3CFA FF015E10
	v_mul_f32_dpp v159, v16, v159 row_newbcast:15 row_mask:0xf bank_mask:0xf// 000000004CE8: 0B3F3EFA FF015F10
	v_lshlrev_b32_e32 v46, 2, v0                               // 000000004CF0: 245C0082
	s_mul_i32 s60, s82, s71                                    // 000000004CF4: 923C4752
	v_add_u32_e64 v80, v46, s60                                // 000000004CF8: D1340050 0000792E
	v_mov_b32_e32 v81, 0                                       // 000000004D00: 7EA20280
	s_mul_i32 s60, s83, s71                                    // 000000004D04: 923C4753
	v_add_u32_e64 v82, v46, s60                                // 000000004D08: D1340052 0000792E
	v_mov_b32_e32 v83, 0                                       // 000000004D10: 7EA60280
	s_mul_i32 s60, s84, s71                                    // 000000004D14: 923C4754
	v_add_u32_e64 v84, v46, s60                                // 000000004D18: D1340054 0000792E
	v_mov_b32_e32 v85, 0                                       // 000000004D20: 7EAA0280
	s_mul_i32 s60, s85, s71                                    // 000000004D24: 923C4755
	v_add_u32_e64 v86, v46, s60                                // 000000004D28: D1340056 0000792E
	v_mov_b32_e32 v87, 0                                       // 000000004D30: 7EAE0280
	s_mul_i32 s60, s86, s71                                    // 000000004D34: 923C4756
	v_add_u32_e64 v88, v46, s60                                // 000000004D38: D1340058 0000792E
	v_mov_b32_e32 v89, 0                                       // 000000004D40: 7EB20280
	s_mul_i32 s60, s87, s71                                    // 000000004D44: 923C4757
	v_add_u32_e64 v90, v46, s60                                // 000000004D48: D134005A 0000792E
	v_mov_b32_e32 v91, 0                                       // 000000004D50: 7EB60280
	s_mul_i32 s60, s88, s71                                    // 000000004D54: 923C4758
	v_add_u32_e64 v92, v46, s60                                // 000000004D58: D134005C 0000792E
	v_mov_b32_e32 v93, 0                                       // 000000004D60: 7EBA0280
	s_mul_i32 s60, s89, s71                                    // 000000004D64: 923C4759
	v_add_u32_e64 v94, v46, s60                                // 000000004D68: D134005E 0000792E
	v_mov_b32_e32 v95, 0                                       // 000000004D70: 7EBE0280
	buffer_load_dword v11, v5, s[16:19], 0 offen               // 000000004D74: E0501000 80040B05
	v_mov_b32_e32 v20, 0x358637bd                              // 000000004D7C: 7E2802FF 358637BD
	v_mov_b32_e32 v21, 0x358637bd                              // 000000004D84: 7E2A02FF 358637BD
	v_max3_f32 v20, |v128|, |v129|, v20                        // 000000004D8C: D1D30314 04530380
	v_max3_f32 v20, |v130|, |v131|, v20                        // 000000004D94: D1D30314 04530782
	v_max3_f32 v21, |v132|, |v133|, v21                        // 000000004D9C: D1D30315 04570B84
	v_max3_f32 v21, |v134|, |v135|, v21                        // 000000004DA4: D1D30315 04570F86
	v_max3_f32 v20, |v136|, |v137|, v20                        // 000000004DAC: D1D30314 04531388
	v_max3_f32 v20, |v138|, |v139|, v20                        // 000000004DB4: D1D30314 0453178A
	v_max3_f32 v21, |v140|, |v141|, v21                        // 000000004DBC: D1D30315 04571B8C
	v_max3_f32 v21, |v142|, |v143|, v21                        // 000000004DC4: D1D30315 04571F8E
	v_max3_f32 v20, |v144|, |v145|, v20                        // 000000004DCC: D1D30314 04532390
	v_max3_f32 v20, |v146|, |v147|, v20                        // 000000004DD4: D1D30314 04532792
	v_max3_f32 v21, |v148|, |v149|, v21                        // 000000004DDC: D1D30315 04572B94
	v_max3_f32 v21, |v150|, |v151|, v21                        // 000000004DE4: D1D30315 04572F96
	v_max3_f32 v20, |v152|, |v153|, v20                        // 000000004DEC: D1D30314 04533398
	v_max3_f32 v20, |v154|, |v155|, v20                        // 000000004DF4: D1D30314 0453379A
	v_max3_f32 v21, |v156|, |v157|, v21                        // 000000004DFC: D1D30315 04573B9C
	v_max3_f32 v21, |v158|, |v159|, v21                        // 000000004E04: D1D30315 04573F9E
	v_lshlrev_b32_e32 v46, 3, v0                               // 000000004E0C: 245C0083
	s_mul_i32 s60, 0x200, s7                                   // 000000004E10: 923C07FF 00000200
	v_add_u32_e32 v46, s60, v46                                // 000000004E18: 685C5C3C
	ds_write_b64 v46, v[20:21] offset:16640                    // 000000004E1C: D89A4100 0000142E
	s_waitcnt lgkmcnt(0)                                       // 000000004E24: BF8CC07F
	s_barrier                                                  // 000000004E28: BF8A0000
	v_and_b32_e32 v46, 15, v0                                  // 000000004E2C: 265C008F
	v_lshlrev_b32_e32 v46, 3, v46                              // 000000004E30: 245C5C83
	ds_read_b64 v[96:97], v46 offset:16640                     // 000000004E34: D8EC4100 6000002E
	ds_read_b64 v[98:99], v46 offset:16768                     // 000000004E3C: D8EC4180 6200002E
	ds_read_b64 v[100:101], v46 offset:16896                   // 000000004E44: D8EC4200 6400002E
	ds_read_b64 v[102:103], v46 offset:17024                   // 000000004E4C: D8EC4280 6600002E
	ds_read_b64 v[104:105], v46 offset:17152                   // 000000004E54: D8EC4300 6800002E
	ds_read_b64 v[106:107], v46 offset:17280                   // 000000004E5C: D8EC4380 6A00002E
	ds_read_b64 v[108:109], v46 offset:17408                   // 000000004E64: D8EC4400 6C00002E
	ds_read_b64 v[110:111], v46 offset:17536                   // 000000004E6C: D8EC4480 6E00002E
	ds_read_b64 v[112:113], v46 offset:17664                   // 000000004E74: D8EC4500 7000002E
	ds_read_b64 v[114:115], v46 offset:17792                   // 000000004E7C: D8EC4580 7200002E
	ds_read_b64 v[116:117], v46 offset:17920                   // 000000004E84: D8EC4600 7400002E
	ds_read_b64 v[118:119], v46 offset:18048                   // 000000004E8C: D8EC4680 7600002E
	ds_read_b64 v[120:121], v46 offset:18176                   // 000000004E94: D8EC4700 7800002E
	ds_read_b64 v[122:123], v46 offset:18304                   // 000000004E9C: D8EC4780 7A00002E
	ds_read_b64 v[124:125], v46 offset:18432                   // 000000004EA4: D8EC4800 7C00002E
	ds_read_b64 v[126:127], v46 offset:18560                   // 000000004EAC: D8EC4880 7E00002E
	s_waitcnt lgkmcnt(0)                                       // 000000004EB4: BF8CC07F
	v_max3_f32 v20, |v96|, |v98|, v20                          // 000000004EB8: D1D30314 0452C560
	v_max3_f32 v21, |v97|, |v99|, v21                          // 000000004EC0: D1D30315 0456C761
	v_max3_f32 v20, |v100|, |v102|, v20                        // 000000004EC8: D1D30314 0452CD64
	v_max3_f32 v21, |v101|, |v103|, v21                        // 000000004ED0: D1D30315 0456CF65
	v_max3_f32 v20, |v104|, |v106|, v20                        // 000000004ED8: D1D30314 0452D568
	v_max3_f32 v21, |v105|, |v107|, v21                        // 000000004EE0: D1D30315 0456D769
	v_max3_f32 v20, |v108|, |v110|, v20                        // 000000004EE8: D1D30314 0452DD6C
	v_max3_f32 v21, |v109|, |v111|, v21                        // 000000004EF0: D1D30315 0456DF6D
	v_max3_f32 v20, |v112|, |v114|, v20                        // 000000004EF8: D1D30314 0452E570
	v_max3_f32 v21, |v113|, |v115|, v21                        // 000000004F00: D1D30315 0456E771
	v_max3_f32 v20, |v116|, |v118|, v20                        // 000000004F08: D1D30314 0452ED74
	v_max3_f32 v21, |v117|, |v119|, v21                        // 000000004F10: D1D30315 0456EF75
	v_max3_f32 v20, |v120|, |v122|, v20                        // 000000004F18: D1D30314 0452F578
	v_max3_f32 v21, |v121|, |v123|, v21                        // 000000004F20: D1D30315 0456F779
	v_max3_f32 v20, |v124|, |v126|, v20                        // 000000004F28: D1D30314 0452FD7C
	v_max3_f32 v21, |v125|, |v127|, v21                        // 000000004F30: D1D30315 0456FF7D
	v_rcp_f32_e32 v20, v20                                     // 000000004F38: 7E284514
	v_rcp_f32_e32 v21, v21                                     // 000000004F3C: 7E2A4515
	v_mov_b32_e32 v46, 0x43e00000                              // 000000004F40: 7E5C02FF 43E00000
	v_mul_f32_e32 v20, v46, v20                                // 000000004F48: 0A28292E
	v_mul_f32_e32 v21, v46, v21                                // 000000004F4C: 0A2A2B2E
	v_mul_f32_e32 v128, v20, v128                              // 000000004F50: 0B010114
	v_mul_f32_e32 v129, v20, v129                              // 000000004F54: 0B030314
	v_mul_f32_e32 v130, v20, v130                              // 000000004F58: 0B050514
	v_mul_f32_e32 v131, v20, v131                              // 000000004F5C: 0B070714
	v_cvt_pk_fp8_f32 v128, v128, v129                          // 000000004F60: D2A20080 00030380
	v_cvt_pk_fp8_f32 v128, v130, v131 op_sel:[0,0,1]           // 000000004F68: D2A24080 00030782
	v_mul_f32_e32 v132, v21, v132                              // 000000004F70: 0B090915
	v_mul_f32_e32 v133, v21, v133                              // 000000004F74: 0B0B0B15
	v_mul_f32_e32 v134, v21, v134                              // 000000004F78: 0B0D0D15
	v_mul_f32_e32 v135, v21, v135                              // 000000004F7C: 0B0F0F15
	v_cvt_pk_fp8_f32 v129, v132, v133                          // 000000004F80: D2A20081 00030B84
	v_cvt_pk_fp8_f32 v129, v134, v135 op_sel:[0,0,1]           // 000000004F88: D2A24081 00030F86
	v_mul_f32_e32 v136, v20, v136                              // 000000004F90: 0B111114
	v_mul_f32_e32 v137, v20, v137                              // 000000004F94: 0B131314
	v_mul_f32_e32 v138, v20, v138                              // 000000004F98: 0B151514
	v_mul_f32_e32 v139, v20, v139                              // 000000004F9C: 0B171714
	v_cvt_pk_fp8_f32 v130, v136, v137                          // 000000004FA0: D2A20082 00031388
	v_cvt_pk_fp8_f32 v130, v138, v139 op_sel:[0,0,1]           // 000000004FA8: D2A24082 0003178A
	v_mul_f32_e32 v140, v21, v140                              // 000000004FB0: 0B191915
	v_mul_f32_e32 v141, v21, v141                              // 000000004FB4: 0B1B1B15
	v_mul_f32_e32 v142, v21, v142                              // 000000004FB8: 0B1D1D15
	v_mul_f32_e32 v143, v21, v143                              // 000000004FBC: 0B1F1F15
	v_cvt_pk_fp8_f32 v131, v140, v141                          // 000000004FC0: D2A20083 00031B8C
	v_cvt_pk_fp8_f32 v131, v142, v143 op_sel:[0,0,1]           // 000000004FC8: D2A24083 00031F8E
	v_mul_f32_e32 v144, v20, v144                              // 000000004FD0: 0B212114
	v_mul_f32_e32 v145, v20, v145                              // 000000004FD4: 0B232314
	v_mul_f32_e32 v146, v20, v146                              // 000000004FD8: 0B252514
	v_mul_f32_e32 v147, v20, v147                              // 000000004FDC: 0B272714
	v_cvt_pk_fp8_f32 v132, v144, v145                          // 000000004FE0: D2A20084 00032390
	v_cvt_pk_fp8_f32 v132, v146, v147 op_sel:[0,0,1]           // 000000004FE8: D2A24084 00032792
	v_mul_f32_e32 v148, v21, v148                              // 000000004FF0: 0B292915
	v_mul_f32_e32 v149, v21, v149                              // 000000004FF4: 0B2B2B15
	v_mul_f32_e32 v150, v21, v150                              // 000000004FF8: 0B2D2D15
	v_mul_f32_e32 v151, v21, v151                              // 000000004FFC: 0B2F2F15
	v_cvt_pk_fp8_f32 v133, v148, v149                          // 000000005000: D2A20085 00032B94
	v_cvt_pk_fp8_f32 v133, v150, v151 op_sel:[0,0,1]           // 000000005008: D2A24085 00032F96
	v_mul_f32_e32 v152, v20, v152                              // 000000005010: 0B313114
	v_mul_f32_e32 v153, v20, v153                              // 000000005014: 0B333314
	v_mul_f32_e32 v154, v20, v154                              // 000000005018: 0B353514
	v_mul_f32_e32 v155, v20, v155                              // 00000000501C: 0B373714
	v_cvt_pk_fp8_f32 v134, v152, v153                          // 000000005020: D2A20086 00033398
	v_cvt_pk_fp8_f32 v134, v154, v155 op_sel:[0,0,1]           // 000000005028: D2A24086 0003379A
	v_mul_f32_e32 v156, v21, v156                              // 000000005030: 0B393915
	v_mul_f32_e32 v157, v21, v157                              // 000000005034: 0B3B3B15
	v_mul_f32_e32 v158, v21, v158                              // 000000005038: 0B3D3D15
	v_mul_f32_e32 v159, v21, v159                              // 00000000503C: 0B3F3F15
	v_cvt_pk_fp8_f32 v135, v156, v157                          // 000000005040: D2A20087 00033B9C
	v_cvt_pk_fp8_f32 v135, v158, v159 op_sel:[0,0,1]           // 000000005048: D2A24087 00033F9E
	v_rcp_f32_e32 v22, v20                                     // 000000005050: 7E2C4514
	v_rcp_f32_e32 v23, v21                                     // 000000005054: 7E2E4515
	v_lshrrev_b32_e32 v46, 5, v0                               // 000000005058: 205C0085
	v_lshlrev_b32_e32 v47, 5, v46                              // 00000000505C: 245E5C85
	v_and_b32_e32 v46, 31, v0                                  // 000000005060: 265C009F
	v_lshrrev_b32_e32 v48, 4, v46                              // 000000005064: 20605C84
	v_add_u32_e32 v47, v48, v47                                // 000000005068: 685E5F30
	v_and_b32_e32 v46, 15, v0                                  // 00000000506C: 265C008F
	v_lshlrev_b32_e32 v46, 1, v46                              // 000000005070: 245C5C81
	v_add_u32_e32 v47, v46, v47                                // 000000005074: 685E5F2E
	v_lshlrev_b32_e32 v46, 2, v47                              // 000000005078: 245C5E82
	s_mul_i32 s60, 0x100, s7                                   // 00000000507C: 923C07FF 00000100
	v_add_u32_e64 v46, v46, s60                                // 000000005084: D134002E 0000792E
	ds_write_b32 v46, v128 offset:18688                        // 00000000508C: D81A4900 0000802E
	ds_write_b32 v46, v129 offset:22784                        // 000000005094: D81A5900 0000812E
	ds_write_b32 v46, v130 offset:19712                        // 00000000509C: D81A4D00 0000822E
	ds_write_b32 v46, v131 offset:23808                        // 0000000050A4: D81A5D00 0000832E
	ds_write_b32 v46, v132 offset:20736                        // 0000000050AC: D81A5100 0000842E
	ds_write_b32 v46, v133 offset:24832                        // 0000000050B4: D81A6100 0000852E
	ds_write_b32 v46, v134 offset:21760                        // 0000000050BC: D81A5500 0000862E
	ds_write_b32 v46, v135 offset:25856                        // 0000000050C4: D81A6500 0000872E
	s_waitcnt lgkmcnt(0)                                       // 0000000050CC: BF8CC07F
	s_barrier                                                  // 0000000050D0: BF8A0000
	v_lshrrev_b32_e32 v46, 4, v0                               // 0000000050D4: 205C0084
	v_lshlrev_b32_e32 v47, 6, v46                              // 0000000050D8: 245E5C86
	v_and_b32_e32 v46, 15, v0                                  // 0000000050DC: 265C008F
	v_lshlrev_b32_e32 v46, 1, v46                              // 0000000050E0: 245C5C81
	v_add_u32_e32 v47, v46, v47                                // 0000000050E4: 685E5F2E
	v_lshlrev_b32_e32 v46, 2, v47                              // 0000000050E8: 245C5E82
	ds_read_b64 v[128:129], v46 offset:18688                   // 0000000050EC: D8EC4900 8000002E
	ds_read_b64 v[130:131], v46 offset:18816                   // 0000000050F4: D8EC4980 8200002E
	ds_read_b64 v[132:133], v46 offset:19712                   // 0000000050FC: D8EC4D00 8400002E
	ds_read_b64 v[134:135], v46 offset:19840                   // 000000005104: D8EC4D80 8600002E
	ds_read_b64 v[136:137], v46 offset:20736                   // 00000000510C: D8EC5100 8800002E
	ds_read_b64 v[138:139], v46 offset:20864                   // 000000005114: D8EC5180 8A00002E
	ds_read_b64 v[140:141], v46 offset:21760                   // 00000000511C: D8EC5500 8C00002E
	ds_read_b64 v[142:143], v46 offset:21888                   // 000000005124: D8EC5580 8E00002E
	ds_read_b64 v[144:145], v46 offset:22784                   // 00000000512C: D8EC5900 9000002E
	ds_read_b64 v[146:147], v46 offset:22912                   // 000000005134: D8EC5980 9200002E
	ds_read_b64 v[148:149], v46 offset:23808                   // 00000000513C: D8EC5D00 9400002E
	ds_read_b64 v[150:151], v46 offset:23936                   // 000000005144: D8EC5D80 9600002E
	ds_read_b64 v[152:153], v46 offset:24832                   // 00000000514C: D8EC6100 9800002E
	ds_read_b64 v[154:155], v46 offset:24960                   // 000000005154: D8EC6180 9A00002E
	ds_read_b64 v[156:157], v46 offset:25856                   // 00000000515C: D8EC6500 9C00002E
	ds_read_b64 v[158:159], v46 offset:25984                   // 000000005164: D8EC6580 9E00002E
	s_add_u32 s12, s56, s12                                    // 00000000516C: 800C0C38
	s_addc_u32 s13, 0, s13                                     // 000000005170: 820D0D80
	s_add_u32 s16, s79, s16                                    // 000000005174: 8010104F
	s_addc_u32 s17, 0, s17                                     // 000000005178: 82111180
	s_mov_b32 s80, 0                                           // 00000000517C: BED00080
	s_waitcnt vmcnt(0) expcnt(0) lgkmcnt(0)                    // 000000005180: BF8C0000

0000000000005184 <label_08E1>:
	s_waitcnt vmcnt(29)                                        // 000000005184: BF8C4F7D
	s_barrier                                                  // 000000005188: BF8A0000
	v_mfma_f32_16x16x32_fp8_fp8 v[160:163], a[0:1], v[128:129], 0// 00000000518C: D3F300A0 0A030100
	v_mfma_f32_16x16x32_fp8_fp8 v[160:163], a[2:3], v[130:131], v[160:163]// 000000005194: D3F300A0 0E830502
	buffer_load_dwordx4 a[64:67], v36, s[12:15], 0 offen       // 00000000519C: E05C1000 80834024
	v_mfma_f32_16x16x32_fp8_fp8 v[164:167], a[0:1], v[144:145], 0// 0000000051A4: D3F300A4 0A032100
	v_mfma_f32_16x16x32_fp8_fp8 v[164:167], a[2:3], v[146:147], v[164:167]// 0000000051AC: D3F300A4 0E932502
	v_mfma_f32_16x16x32_fp8_fp8 v[168:171], a[4:5], v[128:129], 0// 0000000051B4: D3F300A8 0A030104
	v_mfma_f32_16x16x32_fp8_fp8 v[168:171], a[6:7], v[130:131], v[168:171]// 0000000051BC: D3F300A8 0EA30506
	buffer_load_dwordx4 a[68:71], v37, s[12:15], 0 offen       // 0000000051C4: E05C1000 80834425
	v_mfma_f32_16x16x32_fp8_fp8 v[172:175], a[4:5], v[144:145], 0// 0000000051CC: D3F300AC 0A032104
	v_mfma_f32_16x16x32_fp8_fp8 v[172:175], a[6:7], v[146:147], v[172:175]// 0000000051D4: D3F300AC 0EB32506
	v_mfma_f32_16x16x32_fp8_fp8 v[176:179], a[8:9], v[128:129], 0// 0000000051DC: D3F300B0 0A030108
	v_mfma_f32_16x16x32_fp8_fp8 v[176:179], a[10:11], v[130:131], v[176:179]// 0000000051E4: D3F300B0 0EC3050A
	buffer_load_dwordx4 a[72:75], v38, s[12:15], 0 offen       // 0000000051EC: E05C1000 80834826
	v_mfma_f32_16x16x32_fp8_fp8 v[180:183], a[8:9], v[144:145], 0// 0000000051F4: D3F300B4 0A032108
	v_mfma_f32_16x16x32_fp8_fp8 v[180:183], a[10:11], v[146:147], v[180:183]// 0000000051FC: D3F300B4 0ED3250A
	v_mfma_f32_16x16x32_fp8_fp8 v[184:187], a[12:13], v[128:129], 0// 000000005204: D3F300B8 0A03010C
	v_mfma_f32_16x16x32_fp8_fp8 v[184:187], a[14:15], v[130:131], v[184:187]// 00000000520C: D3F300B8 0EE3050E
	buffer_load_dwordx4 a[76:79], v39, s[12:15], 0 offen       // 000000005214: E05C1000 80834C27
	s_add_u32 s12, s78, s12                                    // 00000000521C: 800C0C4E
	s_addc_u32 s13, 0, s13                                     // 000000005220: 820D0D80
	v_mfma_f32_16x16x32_fp8_fp8 v[188:191], a[12:13], v[144:145], 0// 000000005224: D3F300BC 0A03210C
	v_mfma_f32_16x16x32_fp8_fp8 v[188:191], a[14:15], v[146:147], v[188:191]// 00000000522C: D3F300BC 0EF3250E
	s_waitcnt vmcnt(29)                                        // 000000005234: BF8C4F7D
	v_mfma_f32_16x16x32_fp8_fp8 v[160:163], a[16:17], v[132:133], v[160:163]// 000000005238: D3F300A0 0E830910
	v_mfma_f32_16x16x32_fp8_fp8 v[160:163], a[18:19], v[134:135], v[160:163]// 000000005240: D3F300A0 0E830D12
	buffer_load_dwordx4 a[80:83], v36, s[12:15], 0 offen       // 000000005248: E05C1000 80835024
	v_mfma_f32_16x16x32_fp8_fp8 v[164:167], a[16:17], v[148:149], v[164:167]// 000000005250: D3F300A4 0E932910
	v_mfma_f32_16x16x32_fp8_fp8 v[164:167], a[18:19], v[150:151], v[164:167]// 000000005258: D3F300A4 0E932D12
	v_mfma_f32_16x16x32_fp8_fp8 v[168:171], a[20:21], v[132:133], v[168:171]// 000000005260: D3F300A8 0EA30914
	v_mfma_f32_16x16x32_fp8_fp8 v[168:171], a[22:23], v[134:135], v[168:171]// 000000005268: D3F300A8 0EA30D16
	buffer_load_dwordx4 a[84:87], v37, s[12:15], 0 offen       // 000000005270: E05C1000 80835425
	v_mfma_f32_16x16x32_fp8_fp8 v[172:175], a[20:21], v[148:149], v[172:175]// 000000005278: D3F300AC 0EB32914
	v_mfma_f32_16x16x32_fp8_fp8 v[172:175], a[22:23], v[150:151], v[172:175]// 000000005280: D3F300AC 0EB32D16
	v_mfma_f32_16x16x32_fp8_fp8 v[176:179], a[24:25], v[132:133], v[176:179]// 000000005288: D3F300B0 0EC30918
	v_mfma_f32_16x16x32_fp8_fp8 v[176:179], a[26:27], v[134:135], v[176:179]// 000000005290: D3F300B0 0EC30D1A
	buffer_load_dwordx4 a[88:91], v38, s[12:15], 0 offen       // 000000005298: E05C1000 80835826
	v_mfma_f32_16x16x32_fp8_fp8 v[180:183], a[24:25], v[148:149], v[180:183]// 0000000052A0: D3F300B4 0ED32918
	v_mfma_f32_16x16x32_fp8_fp8 v[180:183], a[26:27], v[150:151], v[180:183]// 0000000052A8: D3F300B4 0ED32D1A
	v_mfma_f32_16x16x32_fp8_fp8 v[184:187], a[28:29], v[132:133], v[184:187]// 0000000052B0: D3F300B8 0EE3091C
	v_mfma_f32_16x16x32_fp8_fp8 v[184:187], a[30:31], v[134:135], v[184:187]// 0000000052B8: D3F300B8 0EE30D1E
	buffer_load_dwordx4 a[92:95], v39, s[12:15], 0 offen       // 0000000052C0: E05C1000 80835C27
	s_add_u32 s12, s78, s12                                    // 0000000052C8: 800C0C4E
	s_addc_u32 s13, 0, s13                                     // 0000000052CC: 820D0D80
	v_mfma_f32_16x16x32_fp8_fp8 v[188:191], a[28:29], v[148:149], v[188:191]// 0000000052D0: D3F300BC 0EF3291C
	v_mfma_f32_16x16x32_fp8_fp8 v[188:191], a[30:31], v[150:151], v[188:191]// 0000000052D8: D3F300BC 0EF32D1E
	s_waitcnt vmcnt(29)                                        // 0000000052E0: BF8C4F7D
	v_mfma_f32_16x16x32_fp8_fp8 v[160:163], a[32:33], v[136:137], v[160:163]// 0000000052E4: D3F300A0 0E831120
	v_mfma_f32_16x16x32_fp8_fp8 v[160:163], a[34:35], v[138:139], v[160:163]// 0000000052EC: D3F300A0 0E831522
	buffer_load_dwordx4 a[96:99], v36, s[12:15], 0 offen       // 0000000052F4: E05C1000 80836024
	v_mfma_f32_16x16x32_fp8_fp8 v[164:167], a[32:33], v[152:153], v[164:167]// 0000000052FC: D3F300A4 0E933120
	v_mfma_f32_16x16x32_fp8_fp8 v[164:167], a[34:35], v[154:155], v[164:167]// 000000005304: D3F300A4 0E933522
	v_mfma_f32_16x16x32_fp8_fp8 v[168:171], a[36:37], v[136:137], v[168:171]// 00000000530C: D3F300A8 0EA31124
	v_mfma_f32_16x16x32_fp8_fp8 v[168:171], a[38:39], v[138:139], v[168:171]// 000000005314: D3F300A8 0EA31526
	buffer_load_dwordx4 a[100:103], v37, s[12:15], 0 offen     // 00000000531C: E05C1000 80836425
	v_mfma_f32_16x16x32_fp8_fp8 v[172:175], a[36:37], v[152:153], v[172:175]// 000000005324: D3F300AC 0EB33124
	v_mfma_f32_16x16x32_fp8_fp8 v[172:175], a[38:39], v[154:155], v[172:175]// 00000000532C: D3F300AC 0EB33526
	v_mfma_f32_16x16x32_fp8_fp8 v[176:179], a[40:41], v[136:137], v[176:179]// 000000005334: D3F300B0 0EC31128
	v_mfma_f32_16x16x32_fp8_fp8 v[176:179], a[42:43], v[138:139], v[176:179]// 00000000533C: D3F300B0 0EC3152A
	buffer_load_dwordx4 a[104:107], v38, s[12:15], 0 offen     // 000000005344: E05C1000 80836826
	v_mfma_f32_16x16x32_fp8_fp8 v[180:183], a[40:41], v[152:153], v[180:183]// 00000000534C: D3F300B4 0ED33128
	v_mfma_f32_16x16x32_fp8_fp8 v[180:183], a[42:43], v[154:155], v[180:183]// 000000005354: D3F300B4 0ED3352A
	v_mfma_f32_16x16x32_fp8_fp8 v[184:187], a[44:45], v[136:137], v[184:187]// 00000000535C: D3F300B8 0EE3112C
	v_mfma_f32_16x16x32_fp8_fp8 v[184:187], a[46:47], v[138:139], v[184:187]// 000000005364: D3F300B8 0EE3152E
	buffer_load_dwordx4 a[108:111], v39, s[12:15], 0 offen     // 00000000536C: E05C1000 80836C27
	s_add_u32 s12, s78, s12                                    // 000000005374: 800C0C4E
	s_addc_u32 s13, 0, s13                                     // 000000005378: 820D0D80
	v_mfma_f32_16x16x32_fp8_fp8 v[188:191], a[44:45], v[152:153], v[188:191]// 00000000537C: D3F300BC 0EF3312C
	v_mfma_f32_16x16x32_fp8_fp8 v[188:191], a[46:47], v[154:155], v[188:191]// 000000005384: D3F300BC 0EF3352E
	s_waitcnt vmcnt(28)                                        // 00000000538C: BF8C4F7C
	v_mfma_f32_16x16x32_fp8_fp8 v[160:163], a[48:49], v[140:141], v[160:163]// 000000005390: D3F300A0 0E831930
	v_mfma_f32_16x16x32_fp8_fp8 v[160:163], a[50:51], v[142:143], v[160:163]// 000000005398: D3F300A0 0E831D32
	buffer_load_dwordx4 a[112:115], v36, s[12:15], 0 offen     // 0000000053A0: E05C1000 80837024
	v_mfma_f32_16x16x32_fp8_fp8 v[164:167], a[48:49], v[156:157], v[164:167]// 0000000053A8: D3F300A4 0E933930
	v_mfma_f32_16x16x32_fp8_fp8 v[164:167], a[50:51], v[158:159], v[164:167]// 0000000053B0: D3F300A4 0E933D32
	buffer_load_dword v12, v5, s[16:19], 0 offen               // 0000000053B8: E0501000 80040C05
	v_mfma_f32_16x16x32_fp8_fp8 v[168:171], a[52:53], v[140:141], v[168:171]// 0000000053C0: D3F300A8 0EA31934
	v_mfma_f32_16x16x32_fp8_fp8 v[168:171], a[54:55], v[142:143], v[168:171]// 0000000053C8: D3F300A8 0EA31D36
	buffer_load_dwordx4 a[116:119], v37, s[12:15], 0 offen     // 0000000053D0: E05C1000 80837425
	v_mfma_f32_16x16x32_fp8_fp8 v[172:175], a[52:53], v[156:157], v[172:175]// 0000000053D8: D3F300AC 0EB33934
	v_mfma_f32_16x16x32_fp8_fp8 v[172:175], a[54:55], v[158:159], v[172:175]// 0000000053E0: D3F300AC 0EB33D36
	v_mfma_f32_16x16x32_fp8_fp8 v[176:179], a[56:57], v[140:141], v[176:179]// 0000000053E8: D3F300B0 0EC31938
	v_mfma_f32_16x16x32_fp8_fp8 v[176:179], a[58:59], v[142:143], v[176:179]// 0000000053F0: D3F300B0 0EC31D3A
	buffer_load_dwordx4 a[120:123], v38, s[12:15], 0 offen     // 0000000053F8: E05C1000 80837826
	v_mfma_f32_16x16x32_fp8_fp8 v[180:183], a[56:57], v[156:157], v[180:183]// 000000005400: D3F300B4 0ED33938
	v_mfma_f32_16x16x32_fp8_fp8 v[180:183], a[58:59], v[158:159], v[180:183]// 000000005408: D3F300B4 0ED33D3A
	v_mfma_f32_16x16x32_fp8_fp8 v[184:187], a[60:61], v[140:141], v[184:187]// 000000005410: D3F300B8 0EE3193C
	v_mfma_f32_16x16x32_fp8_fp8 v[184:187], a[62:63], v[142:143], v[184:187]// 000000005418: D3F300B8 0EE31D3E
	buffer_load_dwordx4 a[124:127], v39, s[12:15], 0 offen     // 000000005420: E05C1000 80837C27
	v_mfma_f32_16x16x32_fp8_fp8 v[188:191], a[60:61], v[156:157], v[188:191]// 000000005428: D3F300BC 0EF3393C
	v_mfma_f32_16x16x32_fp8_fp8 v[188:191], a[62:63], v[158:159], v[188:191]// 000000005430: D3F300BC 0EF33D3E
	s_add_u32 s60, 0x200, s80                                  // 000000005438: 803C50FF 00000200
	s_cmp_lt_u32 s60, s81                                      // 000000005440: BF0A513C
	s_cselect_b32 s56, s56, 0                                  // 000000005444: 85388038
	s_cselect_b32 s78, s78, 0                                  // 000000005448: 854E804E
	s_cselect_b32 s79, s79, 0                                  // 00000000544C: 854F804F
	s_add_u32 s12, s56, s12                                    // 000000005450: 800C0C38
	s_addc_u32 s13, 0, s13                                     // 000000005454: 820D0D80
	s_add_u32 s16, s79, s16                                    // 000000005458: 8010104F
	s_addc_u32 s17, 0, s17                                     // 00000000545C: 82111180
	v_mul_f32_e32 v160, v22, v160                              // 000000005460: 0B414116
	v_mul_f32_e32 v161, v22, v161                              // 000000005464: 0B434316
	v_mul_f32_e32 v162, v22, v162                              // 000000005468: 0B454516
	v_mul_f32_e32 v163, v22, v163                              // 00000000546C: 0B474716
	v_mul_f32_dpp v160, v11, v160 row_newbcast:0 row_mask:0xf bank_mask:0xf// 000000005470: 0B4140FA FF01500B
	v_mul_f32_dpp v161, v11, v161 row_newbcast:1 row_mask:0xf bank_mask:0xf// 000000005478: 0B4342FA FF01510B
	v_mul_f32_dpp v162, v11, v162 row_newbcast:2 row_mask:0xf bank_mask:0xf// 000000005480: 0B4544FA FF01520B
	v_mul_f32_dpp v163, v11, v163 row_newbcast:3 row_mask:0xf bank_mask:0xf// 000000005488: 0B4746FA FF01530B
	v_mul_f32_e32 v160, v17, v160                              // 000000005490: 0B414111
	v_mul_f32_e32 v161, v17, v161                              // 000000005494: 0B434311
	v_mul_f32_e32 v162, v17, v162                              // 000000005498: 0B454511
	v_mul_f32_e32 v163, v17, v163                              // 00000000549C: 0B474711
	v_mul_f32_e32 v164, v23, v164                              // 0000000054A0: 0B494917
	v_mul_f32_e32 v165, v23, v165                              // 0000000054A4: 0B4B4B17
	v_mul_f32_e32 v166, v23, v166                              // 0000000054A8: 0B4D4D17
	v_mul_f32_e32 v167, v23, v167                              // 0000000054AC: 0B4F4F17
	v_mul_f32_dpp v164, v11, v164 row_newbcast:0 row_mask:0xf bank_mask:0xf// 0000000054B0: 0B4948FA FF01500B
	v_mul_f32_dpp v165, v11, v165 row_newbcast:1 row_mask:0xf bank_mask:0xf// 0000000054B8: 0B4B4AFA FF01510B
	v_mul_f32_dpp v166, v11, v166 row_newbcast:2 row_mask:0xf bank_mask:0xf// 0000000054C0: 0B4D4CFA FF01520B
	v_mul_f32_dpp v167, v11, v167 row_newbcast:3 row_mask:0xf bank_mask:0xf// 0000000054C8: 0B4F4EFA FF01530B
	v_mul_f32_e32 v164, v18, v164                              // 0000000054D0: 0B494912
	v_mul_f32_e32 v165, v18, v165                              // 0000000054D4: 0B4B4B12
	v_mul_f32_e32 v166, v18, v166                              // 0000000054D8: 0B4D4D12
	v_mul_f32_e32 v167, v18, v167                              // 0000000054DC: 0B4F4F12
	v_mul_f32_e32 v168, v22, v168                              // 0000000054E0: 0B515116
	v_mul_f32_e32 v169, v22, v169                              // 0000000054E4: 0B535316
	v_mul_f32_e32 v170, v22, v170                              // 0000000054E8: 0B555516
	v_mul_f32_e32 v171, v22, v171                              // 0000000054EC: 0B575716
	v_mul_f32_dpp v168, v11, v168 row_newbcast:4 row_mask:0xf bank_mask:0xf// 0000000054F0: 0B5150FA FF01540B
	v_mul_f32_dpp v169, v11, v169 row_newbcast:5 row_mask:0xf bank_mask:0xf// 0000000054F8: 0B5352FA FF01550B
	v_mul_f32_dpp v170, v11, v170 row_newbcast:6 row_mask:0xf bank_mask:0xf// 000000005500: 0B5554FA FF01560B
	v_mul_f32_dpp v171, v11, v171 row_newbcast:7 row_mask:0xf bank_mask:0xf// 000000005508: 0B5756FA FF01570B
	v_mul_f32_e32 v168, v17, v168                              // 000000005510: 0B515111
	v_mul_f32_e32 v169, v17, v169                              // 000000005514: 0B535311
	v_mul_f32_e32 v170, v17, v170                              // 000000005518: 0B555511
	v_mul_f32_e32 v171, v17, v171                              // 00000000551C: 0B575711
	v_mul_f32_e32 v172, v23, v172                              // 000000005520: 0B595917
	v_mul_f32_e32 v173, v23, v173                              // 000000005524: 0B5B5B17
	v_mul_f32_e32 v174, v23, v174                              // 000000005528: 0B5D5D17
	v_mul_f32_e32 v175, v23, v175                              // 00000000552C: 0B5F5F17
	v_mul_f32_dpp v172, v11, v172 row_newbcast:4 row_mask:0xf bank_mask:0xf// 000000005530: 0B5958FA FF01540B
	v_mul_f32_dpp v173, v11, v173 row_newbcast:5 row_mask:0xf bank_mask:0xf// 000000005538: 0B5B5AFA FF01550B
	v_mul_f32_dpp v174, v11, v174 row_newbcast:6 row_mask:0xf bank_mask:0xf// 000000005540: 0B5D5CFA FF01560B
	v_mul_f32_dpp v175, v11, v175 row_newbcast:7 row_mask:0xf bank_mask:0xf// 000000005548: 0B5F5EFA FF01570B
	v_mul_f32_e32 v172, v18, v172                              // 000000005550: 0B595912
	v_mul_f32_e32 v173, v18, v173                              // 000000005554: 0B5B5B12
	v_mul_f32_e32 v174, v18, v174                              // 000000005558: 0B5D5D12
	v_mul_f32_e32 v175, v18, v175                              // 00000000555C: 0B5F5F12
	v_mul_f32_e32 v176, v22, v176                              // 000000005560: 0B616116
	v_mul_f32_e32 v177, v22, v177                              // 000000005564: 0B636316
	v_mul_f32_e32 v178, v22, v178                              // 000000005568: 0B656516
	v_mul_f32_e32 v179, v22, v179                              // 00000000556C: 0B676716
	v_mul_f32_dpp v176, v11, v176 row_newbcast:8 row_mask:0xf bank_mask:0xf// 000000005570: 0B6160FA FF01580B
	v_mul_f32_dpp v177, v11, v177 row_newbcast:9 row_mask:0xf bank_mask:0xf// 000000005578: 0B6362FA FF01590B
	v_mul_f32_dpp v178, v11, v178 row_newbcast:10 row_mask:0xf bank_mask:0xf// 000000005580: 0B6564FA FF015A0B
	v_mul_f32_dpp v179, v11, v179 row_newbcast:11 row_mask:0xf bank_mask:0xf// 000000005588: 0B6766FA FF015B0B
	v_mul_f32_e32 v176, v17, v176                              // 000000005590: 0B616111
	v_mul_f32_e32 v177, v17, v177                              // 000000005594: 0B636311
	v_mul_f32_e32 v178, v17, v178                              // 000000005598: 0B656511
	v_mul_f32_e32 v179, v17, v179                              // 00000000559C: 0B676711
	v_mul_f32_e32 v180, v23, v180                              // 0000000055A0: 0B696917
	v_mul_f32_e32 v181, v23, v181                              // 0000000055A4: 0B6B6B17
	v_mul_f32_e32 v182, v23, v182                              // 0000000055A8: 0B6D6D17
	v_mul_f32_e32 v183, v23, v183                              // 0000000055AC: 0B6F6F17
	v_mul_f32_dpp v180, v11, v180 row_newbcast:8 row_mask:0xf bank_mask:0xf// 0000000055B0: 0B6968FA FF01580B
	v_mul_f32_dpp v181, v11, v181 row_newbcast:9 row_mask:0xf bank_mask:0xf// 0000000055B8: 0B6B6AFA FF01590B
	v_mul_f32_dpp v182, v11, v182 row_newbcast:10 row_mask:0xf bank_mask:0xf// 0000000055C0: 0B6D6CFA FF015A0B
	v_mul_f32_dpp v183, v11, v183 row_newbcast:11 row_mask:0xf bank_mask:0xf// 0000000055C8: 0B6F6EFA FF015B0B
	v_mul_f32_e32 v180, v18, v180                              // 0000000055D0: 0B696912
	v_mul_f32_e32 v181, v18, v181                              // 0000000055D4: 0B6B6B12
	v_mul_f32_e32 v182, v18, v182                              // 0000000055D8: 0B6D6D12
	v_mul_f32_e32 v183, v18, v183                              // 0000000055DC: 0B6F6F12
	v_mul_f32_e32 v184, v22, v184                              // 0000000055E0: 0B717116
	v_mul_f32_e32 v185, v22, v185                              // 0000000055E4: 0B737316
	v_mul_f32_e32 v186, v22, v186                              // 0000000055E8: 0B757516
	v_mul_f32_e32 v187, v22, v187                              // 0000000055EC: 0B777716
	v_mul_f32_dpp v184, v11, v184 row_newbcast:12 row_mask:0xf bank_mask:0xf// 0000000055F0: 0B7170FA FF015C0B
	v_mul_f32_dpp v185, v11, v185 row_newbcast:13 row_mask:0xf bank_mask:0xf// 0000000055F8: 0B7372FA FF015D0B
	v_mul_f32_dpp v186, v11, v186 row_newbcast:14 row_mask:0xf bank_mask:0xf// 000000005600: 0B7574FA FF015E0B
	v_mul_f32_dpp v187, v11, v187 row_newbcast:15 row_mask:0xf bank_mask:0xf// 000000005608: 0B7776FA FF015F0B
	v_mul_f32_e32 v184, v17, v184                              // 000000005610: 0B717111
	v_mul_f32_e32 v185, v17, v185                              // 000000005614: 0B737311
	v_mul_f32_e32 v186, v17, v186                              // 000000005618: 0B757511
	v_mul_f32_e32 v187, v17, v187                              // 00000000561C: 0B777711
	v_mul_f32_e32 v188, v23, v188                              // 000000005620: 0B797917
	v_mul_f32_e32 v189, v23, v189                              // 000000005624: 0B7B7B17
	v_mul_f32_e32 v190, v23, v190                              // 000000005628: 0B7D7D17
	v_mul_f32_e32 v191, v23, v191                              // 00000000562C: 0B7F7F17
	v_mul_f32_dpp v188, v11, v188 row_newbcast:12 row_mask:0xf bank_mask:0xf// 000000005630: 0B7978FA FF015C0B
	v_mul_f32_dpp v189, v11, v189 row_newbcast:13 row_mask:0xf bank_mask:0xf// 000000005638: 0B7B7AFA FF015D0B
	v_mul_f32_dpp v190, v11, v190 row_newbcast:14 row_mask:0xf bank_mask:0xf// 000000005640: 0B7D7CFA FF015E0B
	v_mul_f32_dpp v191, v11, v191 row_newbcast:15 row_mask:0xf bank_mask:0xf// 000000005648: 0B7F7EFA FF015F0B
	v_mul_f32_e32 v188, v18, v188                              // 000000005650: 0B797912
	v_mul_f32_e32 v189, v18, v189                              // 000000005654: 0B7B7B12
	v_mul_f32_e32 v190, v18, v190                              // 000000005658: 0B7D7D12
	v_mul_f32_e32 v191, v18, v191                              // 00000000565C: 0B7F7F12
	v_cvt_pkrtz_f16_f32 v160, v160, v161                       // 000000005660: D29600A0 000343A0
	v_cvt_pkrtz_f16_f32 v161, v162, v163                       // 000000005668: D29600A1 000347A2
	v_cvt_pkrtz_f16_f32 v162, v164, v165                       // 000000005670: D29600A2 00034BA4
	v_cvt_pkrtz_f16_f32 v163, v166, v167                       // 000000005678: D29600A3 00034FA6
	v_cvt_pkrtz_f16_f32 v164, v168, v169                       // 000000005680: D29600A4 000353A8
	v_cvt_pkrtz_f16_f32 v165, v170, v171                       // 000000005688: D29600A5 000357AA
	v_cvt_pkrtz_f16_f32 v166, v172, v173                       // 000000005690: D29600A6 00035BAC
	v_cvt_pkrtz_f16_f32 v167, v174, v175                       // 000000005698: D29600A7 00035FAE
	v_cvt_pkrtz_f16_f32 v168, v176, v177                       // 0000000056A0: D29600A8 000363B0
	v_cvt_pkrtz_f16_f32 v169, v178, v179                       // 0000000056A8: D29600A9 000367B2
	v_cvt_pkrtz_f16_f32 v170, v180, v181                       // 0000000056B0: D29600AA 00036BB4
	v_cvt_pkrtz_f16_f32 v171, v182, v183                       // 0000000056B8: D29600AB 00036FB6
	v_cvt_pkrtz_f16_f32 v172, v184, v185                       // 0000000056C0: D29600AC 000373B8
	v_cvt_pkrtz_f16_f32 v173, v186, v187                       // 0000000056C8: D29600AD 000377BA
	v_cvt_pkrtz_f16_f32 v174, v188, v189                       // 0000000056D0: D29600AE 00037BBC
	v_cvt_pkrtz_f16_f32 v175, v190, v191                       // 0000000056D8: D29600AF 00037FBE
	ds_write_b64 v3, v[160:161] offset:26880                   // 0000000056E0: D89A6900 0000A003
	ds_write_b64 v3, v[162:163] offset:35584                   // 0000000056E8: D89A8B00 0000A203
	ds_write_b64 v3, v[164:165] offset:29056                   // 0000000056F0: D89A7180 0000A403
	ds_write_b64 v3, v[166:167] offset:37760                   // 0000000056F8: D89A9380 0000A603
	ds_write_b64 v3, v[168:169] offset:31232                   // 000000005700: D89A7A00 0000A803
	ds_write_b64 v3, v[170:171] offset:39936                   // 000000005708: D89A9C00 0000AA03
	ds_write_b64 v3, v[172:173] offset:33408                   // 000000005710: D89A8280 0000AC03
	ds_write_b64 v3, v[174:175] offset:42112                   // 000000005718: D89AA480 0000AE03
	s_waitcnt lgkmcnt(0)                                       // 000000005720: BF8CC07F
	s_barrier                                                  // 000000005724: BF8A0000
	ds_read_b32 v64, v4 offset:26880                           // 000000005728: D86C6900 40000004
	ds_read_b32 v65, v4 offset:31232                           // 000000005730: D86C7A00 41000004
	ds_read_b32 v66, v4 offset:26912                           // 000000005738: D86C6920 42000004
	ds_read_b32 v67, v4 offset:31264                           // 000000005740: D86C7A20 43000004
	ds_read_b32 v68, v4 offset:26944                           // 000000005748: D86C6940 44000004
	ds_read_b32 v69, v4 offset:31296                           // 000000005750: D86C7A40 45000004
	ds_read_b32 v70, v4 offset:26976                           // 000000005758: D86C6960 46000004
	ds_read_b32 v71, v4 offset:31328                           // 000000005760: D86C7A60 47000004
	ds_read_b32 v72, v4 offset:35584                           // 000000005768: D86C8B00 48000004
	ds_read_b32 v73, v4 offset:39936                           // 000000005770: D86C9C00 49000004
	ds_read_b32 v74, v4 offset:35616                           // 000000005778: D86C8B20 4A000004
	ds_read_b32 v75, v4 offset:39968                           // 000000005780: D86C9C20 4B000004
	ds_read_b32 v76, v4 offset:35648                           // 000000005788: D86C8B40 4C000004
	ds_read_b32 v77, v4 offset:40000                           // 000000005790: D86C9C40 4D000004
	ds_read_b32 v78, v4 offset:35680                           // 000000005798: D86C8B60 4E000004
	ds_read_b32 v79, v4 offset:40032                           // 0000000057A0: D86C9C60 4F000004
	s_waitcnt lgkmcnt(0)                                       // 0000000057A8: BF8CC07F
	s_mov_b64 exec, s[20:21]                                   // 0000000057AC: BEFE0114
	global_atomic_pk_add_f16 v80, v64, s[8:9]                  // 0000000057B0: DD388000 00084050
	s_mov_b64 exec, s[36:37]                                   // 0000000057B8: BEFE0124
	s_mov_b64 exec, s[20:21]                                   // 0000000057BC: BEFE0114
	global_atomic_pk_add_f16 v80, v65, s[8:9] offset:256       // 0000000057C0: DD388100 00084150
	s_mov_b64 exec, s[36:37]                                   // 0000000057C8: BEFE0124
	s_mov_b64 exec, s[22:23]                                   // 0000000057CC: BEFE0116
	global_atomic_pk_add_f16 v82, v66, s[8:9]                  // 0000000057D0: DD388000 00084252
	s_mov_b64 exec, s[36:37]                                   // 0000000057D8: BEFE0124
	s_mov_b64 exec, s[22:23]                                   // 0000000057DC: BEFE0116
	global_atomic_pk_add_f16 v82, v67, s[8:9] offset:256       // 0000000057E0: DD388100 00084352
	s_mov_b64 exec, s[36:37]                                   // 0000000057E8: BEFE0124
	s_mov_b64 exec, s[24:25]                                   // 0000000057EC: BEFE0118
	global_atomic_pk_add_f16 v84, v68, s[8:9]                  // 0000000057F0: DD388000 00084454
	s_mov_b64 exec, s[36:37]                                   // 0000000057F8: BEFE0124
	s_mov_b64 exec, s[24:25]                                   // 0000000057FC: BEFE0118
	global_atomic_pk_add_f16 v84, v69, s[8:9] offset:256       // 000000005800: DD388100 00084554
	s_mov_b64 exec, s[36:37]                                   // 000000005808: BEFE0124
	s_mov_b64 exec, s[26:27]                                   // 00000000580C: BEFE011A
	global_atomic_pk_add_f16 v86, v70, s[8:9]                  // 000000005810: DD388000 00084656
	s_mov_b64 exec, s[36:37]                                   // 000000005818: BEFE0124
	s_mov_b64 exec, s[26:27]                                   // 00000000581C: BEFE011A
	global_atomic_pk_add_f16 v86, v71, s[8:9] offset:256       // 000000005820: DD388100 00084756
	s_mov_b64 exec, s[36:37]                                   // 000000005828: BEFE0124
	s_mov_b64 exec, s[28:29]                                   // 00000000582C: BEFE011C
	global_atomic_pk_add_f16 v88, v72, s[8:9]                  // 000000005830: DD388000 00084858
	s_mov_b64 exec, s[36:37]                                   // 000000005838: BEFE0124
	s_mov_b64 exec, s[28:29]                                   // 00000000583C: BEFE011C
	global_atomic_pk_add_f16 v88, v73, s[8:9] offset:256       // 000000005840: DD388100 00084958
	s_mov_b64 exec, s[36:37]                                   // 000000005848: BEFE0124
	s_mov_b64 exec, s[30:31]                                   // 00000000584C: BEFE011E
	global_atomic_pk_add_f16 v90, v74, s[8:9]                  // 000000005850: DD388000 00084A5A
	s_mov_b64 exec, s[36:37]                                   // 000000005858: BEFE0124
	s_mov_b64 exec, s[30:31]                                   // 00000000585C: BEFE011E
	global_atomic_pk_add_f16 v90, v75, s[8:9] offset:256       // 000000005860: DD388100 00084B5A
	s_mov_b64 exec, s[36:37]                                   // 000000005868: BEFE0124
	s_mov_b64 exec, s[32:33]                                   // 00000000586C: BEFE0120
	global_atomic_pk_add_f16 v92, v76, s[8:9]                  // 000000005870: DD388000 00084C5C
	s_mov_b64 exec, s[36:37]                                   // 000000005878: BEFE0124
	s_mov_b64 exec, s[32:33]                                   // 00000000587C: BEFE0120
	global_atomic_pk_add_f16 v92, v77, s[8:9] offset:256       // 000000005880: DD388100 00084D5C
	s_mov_b64 exec, s[36:37]                                   // 000000005888: BEFE0124
	s_mov_b64 exec, s[34:35]                                   // 00000000588C: BEFE0122
	global_atomic_pk_add_f16 v94, v78, s[8:9]                  // 000000005890: DD388000 00084E5E
	s_mov_b64 exec, s[36:37]                                   // 000000005898: BEFE0124
	s_mov_b64 exec, s[34:35]                                   // 00000000589C: BEFE0122
	global_atomic_pk_add_f16 v94, v79, s[8:9] offset:256       // 0000000058A0: DD388100 00084F5E
	s_mov_b64 exec, s[36:37]                                   // 0000000058A8: BEFE0124
	s_add_u32 s8, s59, s8                                      // 0000000058AC: 8008083B
	s_addc_u32 s9, 0, s9                                       // 0000000058B0: 82090980
	s_addk_i32 s80, 0x100                                      // 0000000058B4: B7500100
	s_cmp_lt_i32 s80, s81                                      // 0000000058B8: BF045150
	s_cbranch_scc0 label_0C80                                  // 0000000058BC: BF8401D0
	s_waitcnt vmcnt(29)                                        // 0000000058C0: BF8C4F7D
	s_barrier                                                  // 0000000058C4: BF8A0000
	v_mfma_f32_16x16x32_fp8_fp8 v[192:195], a[64:65], v[128:129], 0// 0000000058C8: D3F300C0 0A030140
	v_mfma_f32_16x16x32_fp8_fp8 v[192:195], a[66:67], v[130:131], v[192:195]// 0000000058D0: D3F300C0 0F030542
	buffer_load_dwordx4 a[0:3], v36, s[12:15], 0 offen         // 0000000058D8: E05C1000 80830024
	v_mfma_f32_16x16x32_fp8_fp8 v[196:199], a[64:65], v[144:145], 0// 0000000058E0: D3F300C4 0A032140
	v_mfma_f32_16x16x32_fp8_fp8 v[196:199], a[66:67], v[146:147], v[196:199]// 0000000058E8: D3F300C4 0F132542
	v_mfma_f32_16x16x32_fp8_fp8 v[200:203], a[68:69], v[128:129], 0// 0000000058F0: D3F300C8 0A030144
	v_mfma_f32_16x16x32_fp8_fp8 v[200:203], a[70:71], v[130:131], v[200:203]// 0000000058F8: D3F300C8 0F230546
	buffer_load_dwordx4 a[4:7], v37, s[12:15], 0 offen         // 000000005900: E05C1000 80830425
	v_mfma_f32_16x16x32_fp8_fp8 v[204:207], a[68:69], v[144:145], 0// 000000005908: D3F300CC 0A032144
	v_mfma_f32_16x16x32_fp8_fp8 v[204:207], a[70:71], v[146:147], v[204:207]// 000000005910: D3F300CC 0F332546
	v_mfma_f32_16x16x32_fp8_fp8 v[208:211], a[72:73], v[128:129], 0// 000000005918: D3F300D0 0A030148
	v_mfma_f32_16x16x32_fp8_fp8 v[208:211], a[74:75], v[130:131], v[208:211]// 000000005920: D3F300D0 0F43054A
	buffer_load_dwordx4 a[8:11], v38, s[12:15], 0 offen        // 000000005928: E05C1000 80830826
	v_mfma_f32_16x16x32_fp8_fp8 v[212:215], a[72:73], v[144:145], 0// 000000005930: D3F300D4 0A032148
	v_mfma_f32_16x16x32_fp8_fp8 v[212:215], a[74:75], v[146:147], v[212:215]// 000000005938: D3F300D4 0F53254A
	v_mfma_f32_16x16x32_fp8_fp8 v[216:219], a[76:77], v[128:129], 0// 000000005940: D3F300D8 0A03014C
	v_mfma_f32_16x16x32_fp8_fp8 v[216:219], a[78:79], v[130:131], v[216:219]// 000000005948: D3F300D8 0F63054E
	buffer_load_dwordx4 a[12:15], v39, s[12:15], 0 offen       // 000000005950: E05C1000 80830C27
	s_add_u32 s12, s78, s12                                    // 000000005958: 800C0C4E
	s_addc_u32 s13, 0, s13                                     // 00000000595C: 820D0D80
	v_mfma_f32_16x16x32_fp8_fp8 v[220:223], a[76:77], v[144:145], 0// 000000005960: D3F300DC 0A03214C
	v_mfma_f32_16x16x32_fp8_fp8 v[220:223], a[78:79], v[146:147], v[220:223]// 000000005968: D3F300DC 0F73254E
	s_waitcnt vmcnt(29)                                        // 000000005970: BF8C4F7D
	v_mfma_f32_16x16x32_fp8_fp8 v[192:195], a[80:81], v[132:133], v[192:195]// 000000005974: D3F300C0 0F030950
	v_mfma_f32_16x16x32_fp8_fp8 v[192:195], a[82:83], v[134:135], v[192:195]// 00000000597C: D3F300C0 0F030D52
	buffer_load_dwordx4 a[16:19], v36, s[12:15], 0 offen       // 000000005984: E05C1000 80831024
	v_mfma_f32_16x16x32_fp8_fp8 v[196:199], a[80:81], v[148:149], v[196:199]// 00000000598C: D3F300C4 0F132950
	v_mfma_f32_16x16x32_fp8_fp8 v[196:199], a[82:83], v[150:151], v[196:199]// 000000005994: D3F300C4 0F132D52
	v_mfma_f32_16x16x32_fp8_fp8 v[200:203], a[84:85], v[132:133], v[200:203]// 00000000599C: D3F300C8 0F230954
	v_mfma_f32_16x16x32_fp8_fp8 v[200:203], a[86:87], v[134:135], v[200:203]// 0000000059A4: D3F300C8 0F230D56
	buffer_load_dwordx4 a[20:23], v37, s[12:15], 0 offen       // 0000000059AC: E05C1000 80831425
	v_mfma_f32_16x16x32_fp8_fp8 v[204:207], a[84:85], v[148:149], v[204:207]// 0000000059B4: D3F300CC 0F332954
	v_mfma_f32_16x16x32_fp8_fp8 v[204:207], a[86:87], v[150:151], v[204:207]// 0000000059BC: D3F300CC 0F332D56
	v_mfma_f32_16x16x32_fp8_fp8 v[208:211], a[88:89], v[132:133], v[208:211]// 0000000059C4: D3F300D0 0F430958
	v_mfma_f32_16x16x32_fp8_fp8 v[208:211], a[90:91], v[134:135], v[208:211]// 0000000059CC: D3F300D0 0F430D5A
	buffer_load_dwordx4 a[24:27], v38, s[12:15], 0 offen       // 0000000059D4: E05C1000 80831826
	v_mfma_f32_16x16x32_fp8_fp8 v[212:215], a[88:89], v[148:149], v[212:215]// 0000000059DC: D3F300D4 0F532958
	v_mfma_f32_16x16x32_fp8_fp8 v[212:215], a[90:91], v[150:151], v[212:215]// 0000000059E4: D3F300D4 0F532D5A
	v_mfma_f32_16x16x32_fp8_fp8 v[216:219], a[92:93], v[132:133], v[216:219]// 0000000059EC: D3F300D8 0F63095C
	v_mfma_f32_16x16x32_fp8_fp8 v[216:219], a[94:95], v[134:135], v[216:219]// 0000000059F4: D3F300D8 0F630D5E
	buffer_load_dwordx4 a[28:31], v39, s[12:15], 0 offen       // 0000000059FC: E05C1000 80831C27
	s_add_u32 s12, s78, s12                                    // 000000005A04: 800C0C4E
	s_addc_u32 s13, 0, s13                                     // 000000005A08: 820D0D80
	v_mfma_f32_16x16x32_fp8_fp8 v[220:223], a[92:93], v[148:149], v[220:223]// 000000005A0C: D3F300DC 0F73295C
	v_mfma_f32_16x16x32_fp8_fp8 v[220:223], a[94:95], v[150:151], v[220:223]// 000000005A14: D3F300DC 0F732D5E
	s_waitcnt vmcnt(29)                                        // 000000005A1C: BF8C4F7D
	v_mfma_f32_16x16x32_fp8_fp8 v[192:195], a[96:97], v[136:137], v[192:195]// 000000005A20: D3F300C0 0F031160
	v_mfma_f32_16x16x32_fp8_fp8 v[192:195], a[98:99], v[138:139], v[192:195]// 000000005A28: D3F300C0 0F031562
	buffer_load_dwordx4 a[32:35], v36, s[12:15], 0 offen       // 000000005A30: E05C1000 80832024
	v_mfma_f32_16x16x32_fp8_fp8 v[196:199], a[96:97], v[152:153], v[196:199]// 000000005A38: D3F300C4 0F133160
	v_mfma_f32_16x16x32_fp8_fp8 v[196:199], a[98:99], v[154:155], v[196:199]// 000000005A40: D3F300C4 0F133562
	v_mfma_f32_16x16x32_fp8_fp8 v[200:203], a[100:101], v[136:137], v[200:203]// 000000005A48: D3F300C8 0F231164
	v_mfma_f32_16x16x32_fp8_fp8 v[200:203], a[102:103], v[138:139], v[200:203]// 000000005A50: D3F300C8 0F231566
	buffer_load_dwordx4 a[36:39], v37, s[12:15], 0 offen       // 000000005A58: E05C1000 80832425
	v_mfma_f32_16x16x32_fp8_fp8 v[204:207], a[100:101], v[152:153], v[204:207]// 000000005A60: D3F300CC 0F333164
	v_mfma_f32_16x16x32_fp8_fp8 v[204:207], a[102:103], v[154:155], v[204:207]// 000000005A68: D3F300CC 0F333566
	v_mfma_f32_16x16x32_fp8_fp8 v[208:211], a[104:105], v[136:137], v[208:211]// 000000005A70: D3F300D0 0F431168
	v_mfma_f32_16x16x32_fp8_fp8 v[208:211], a[106:107], v[138:139], v[208:211]// 000000005A78: D3F300D0 0F43156A
	buffer_load_dwordx4 a[40:43], v38, s[12:15], 0 offen       // 000000005A80: E05C1000 80832826
	v_mfma_f32_16x16x32_fp8_fp8 v[212:215], a[104:105], v[152:153], v[212:215]// 000000005A88: D3F300D4 0F533168
	v_mfma_f32_16x16x32_fp8_fp8 v[212:215], a[106:107], v[154:155], v[212:215]// 000000005A90: D3F300D4 0F53356A
	v_mfma_f32_16x16x32_fp8_fp8 v[216:219], a[108:109], v[136:137], v[216:219]// 000000005A98: D3F300D8 0F63116C
	v_mfma_f32_16x16x32_fp8_fp8 v[216:219], a[110:111], v[138:139], v[216:219]// 000000005AA0: D3F300D8 0F63156E
	buffer_load_dwordx4 a[44:47], v39, s[12:15], 0 offen       // 000000005AA8: E05C1000 80832C27
	s_add_u32 s12, s78, s12                                    // 000000005AB0: 800C0C4E
	s_addc_u32 s13, 0, s13                                     // 000000005AB4: 820D0D80
	v_mfma_f32_16x16x32_fp8_fp8 v[220:223], a[108:109], v[152:153], v[220:223]// 000000005AB8: D3F300DC 0F73316C
	v_mfma_f32_16x16x32_fp8_fp8 v[220:223], a[110:111], v[154:155], v[220:223]// 000000005AC0: D3F300DC 0F73356E
	s_waitcnt vmcnt(28)                                        // 000000005AC8: BF8C4F7C
	v_mfma_f32_16x16x32_fp8_fp8 v[192:195], a[112:113], v[140:141], v[192:195]// 000000005ACC: D3F300C0 0F031970
	v_mfma_f32_16x16x32_fp8_fp8 v[192:195], a[114:115], v[142:143], v[192:195]// 000000005AD4: D3F300C0 0F031D72
	buffer_load_dwordx4 a[48:51], v36, s[12:15], 0 offen       // 000000005ADC: E05C1000 80833024
	v_mfma_f32_16x16x32_fp8_fp8 v[196:199], a[112:113], v[156:157], v[196:199]// 000000005AE4: D3F300C4 0F133970
	v_mfma_f32_16x16x32_fp8_fp8 v[196:199], a[114:115], v[158:159], v[196:199]// 000000005AEC: D3F300C4 0F133D72
	buffer_load_dword v11, v5, s[16:19], 0 offen               // 000000005AF4: E0501000 80040B05
	v_mfma_f32_16x16x32_fp8_fp8 v[200:203], a[116:117], v[140:141], v[200:203]// 000000005AFC: D3F300C8 0F231974
	v_mfma_f32_16x16x32_fp8_fp8 v[200:203], a[118:119], v[142:143], v[200:203]// 000000005B04: D3F300C8 0F231D76
	buffer_load_dwordx4 a[52:55], v37, s[12:15], 0 offen       // 000000005B0C: E05C1000 80833425
	v_mfma_f32_16x16x32_fp8_fp8 v[204:207], a[116:117], v[156:157], v[204:207]// 000000005B14: D3F300CC 0F333974
	v_mfma_f32_16x16x32_fp8_fp8 v[204:207], a[118:119], v[158:159], v[204:207]// 000000005B1C: D3F300CC 0F333D76
	v_mfma_f32_16x16x32_fp8_fp8 v[208:211], a[120:121], v[140:141], v[208:211]// 000000005B24: D3F300D0 0F431978
	v_mfma_f32_16x16x32_fp8_fp8 v[208:211], a[122:123], v[142:143], v[208:211]// 000000005B2C: D3F300D0 0F431D7A
	buffer_load_dwordx4 a[56:59], v38, s[12:15], 0 offen       // 000000005B34: E05C1000 80833826
	v_mfma_f32_16x16x32_fp8_fp8 v[212:215], a[120:121], v[156:157], v[212:215]// 000000005B3C: D3F300D4 0F533978
	v_mfma_f32_16x16x32_fp8_fp8 v[212:215], a[122:123], v[158:159], v[212:215]// 000000005B44: D3F300D4 0F533D7A
	v_mfma_f32_16x16x32_fp8_fp8 v[216:219], a[124:125], v[140:141], v[216:219]// 000000005B4C: D3F300D8 0F63197C
	v_mfma_f32_16x16x32_fp8_fp8 v[216:219], a[126:127], v[142:143], v[216:219]// 000000005B54: D3F300D8 0F631D7E
	buffer_load_dwordx4 a[60:63], v39, s[12:15], 0 offen       // 000000005B5C: E05C1000 80833C27
	v_mfma_f32_16x16x32_fp8_fp8 v[220:223], a[124:125], v[156:157], v[220:223]// 000000005B64: D3F300DC 0F73397C
	v_mfma_f32_16x16x32_fp8_fp8 v[220:223], a[126:127], v[158:159], v[220:223]// 000000005B6C: D3F300DC 0F733D7E
	s_add_u32 s60, 0x200, s80                                  // 000000005B74: 803C50FF 00000200
	s_cmp_lt_u32 s60, s81                                      // 000000005B7C: BF0A513C
	s_cselect_b32 s56, s56, 0                                  // 000000005B80: 85388038
	s_cselect_b32 s78, s78, 0                                  // 000000005B84: 854E804E
	s_cselect_b32 s79, s79, 0                                  // 000000005B88: 854F804F
	s_add_u32 s12, s56, s12                                    // 000000005B8C: 800C0C38
	s_addc_u32 s13, 0, s13                                     // 000000005B90: 820D0D80
	s_add_u32 s16, s79, s16                                    // 000000005B94: 8010104F
	s_addc_u32 s17, 0, s17                                     // 000000005B98: 82111180
	v_mul_f32_e32 v192, v22, v192                              // 000000005B9C: 0B818116
	v_mul_f32_e32 v193, v22, v193                              // 000000005BA0: 0B838316
	v_mul_f32_e32 v194, v22, v194                              // 000000005BA4: 0B858516
	v_mul_f32_e32 v195, v22, v195                              // 000000005BA8: 0B878716
	v_mul_f32_dpp v192, v12, v192 row_newbcast:0 row_mask:0xf bank_mask:0xf// 000000005BAC: 0B8180FA FF01500C
	v_mul_f32_dpp v193, v12, v193 row_newbcast:1 row_mask:0xf bank_mask:0xf// 000000005BB4: 0B8382FA FF01510C
	v_mul_f32_dpp v194, v12, v194 row_newbcast:2 row_mask:0xf bank_mask:0xf// 000000005BBC: 0B8584FA FF01520C
	v_mul_f32_dpp v195, v12, v195 row_newbcast:3 row_mask:0xf bank_mask:0xf// 000000005BC4: 0B8786FA FF01530C
	v_mul_f32_e32 v192, v17, v192                              // 000000005BCC: 0B818111
	v_mul_f32_e32 v193, v17, v193                              // 000000005BD0: 0B838311
	v_mul_f32_e32 v194, v17, v194                              // 000000005BD4: 0B858511
	v_mul_f32_e32 v195, v17, v195                              // 000000005BD8: 0B878711
	v_mul_f32_e32 v196, v23, v196                              // 000000005BDC: 0B898917
	v_mul_f32_e32 v197, v23, v197                              // 000000005BE0: 0B8B8B17
	v_mul_f32_e32 v198, v23, v198                              // 000000005BE4: 0B8D8D17
	v_mul_f32_e32 v199, v23, v199                              // 000000005BE8: 0B8F8F17
	v_mul_f32_dpp v196, v12, v196 row_newbcast:0 row_mask:0xf bank_mask:0xf// 000000005BEC: 0B8988FA FF01500C
	v_mul_f32_dpp v197, v12, v197 row_newbcast:1 row_mask:0xf bank_mask:0xf// 000000005BF4: 0B8B8AFA FF01510C
	v_mul_f32_dpp v198, v12, v198 row_newbcast:2 row_mask:0xf bank_mask:0xf// 000000005BFC: 0B8D8CFA FF01520C
	v_mul_f32_dpp v199, v12, v199 row_newbcast:3 row_mask:0xf bank_mask:0xf// 000000005C04: 0B8F8EFA FF01530C
	v_mul_f32_e32 v196, v18, v196                              // 000000005C0C: 0B898912
	v_mul_f32_e32 v197, v18, v197                              // 000000005C10: 0B8B8B12
	v_mul_f32_e32 v198, v18, v198                              // 000000005C14: 0B8D8D12
	v_mul_f32_e32 v199, v18, v199                              // 000000005C18: 0B8F8F12
	v_mul_f32_e32 v200, v22, v200                              // 000000005C1C: 0B919116
	v_mul_f32_e32 v201, v22, v201                              // 000000005C20: 0B939316
	v_mul_f32_e32 v202, v22, v202                              // 000000005C24: 0B959516
	v_mul_f32_e32 v203, v22, v203                              // 000000005C28: 0B979716
	v_mul_f32_dpp v200, v12, v200 row_newbcast:4 row_mask:0xf bank_mask:0xf// 000000005C2C: 0B9190FA FF01540C
	v_mul_f32_dpp v201, v12, v201 row_newbcast:5 row_mask:0xf bank_mask:0xf// 000000005C34: 0B9392FA FF01550C
	v_mul_f32_dpp v202, v12, v202 row_newbcast:6 row_mask:0xf bank_mask:0xf// 000000005C3C: 0B9594FA FF01560C
	v_mul_f32_dpp v203, v12, v203 row_newbcast:7 row_mask:0xf bank_mask:0xf// 000000005C44: 0B9796FA FF01570C
	v_mul_f32_e32 v200, v17, v200                              // 000000005C4C: 0B919111
	v_mul_f32_e32 v201, v17, v201                              // 000000005C50: 0B939311
	v_mul_f32_e32 v202, v17, v202                              // 000000005C54: 0B959511
	v_mul_f32_e32 v203, v17, v203                              // 000000005C58: 0B979711
	v_mul_f32_e32 v204, v23, v204                              // 000000005C5C: 0B999917
	v_mul_f32_e32 v205, v23, v205                              // 000000005C60: 0B9B9B17
	v_mul_f32_e32 v206, v23, v206                              // 000000005C64: 0B9D9D17
	v_mul_f32_e32 v207, v23, v207                              // 000000005C68: 0B9F9F17
	v_mul_f32_dpp v204, v12, v204 row_newbcast:4 row_mask:0xf bank_mask:0xf// 000000005C6C: 0B9998FA FF01540C
	v_mul_f32_dpp v205, v12, v205 row_newbcast:5 row_mask:0xf bank_mask:0xf// 000000005C74: 0B9B9AFA FF01550C
	v_mul_f32_dpp v206, v12, v206 row_newbcast:6 row_mask:0xf bank_mask:0xf// 000000005C7C: 0B9D9CFA FF01560C
	v_mul_f32_dpp v207, v12, v207 row_newbcast:7 row_mask:0xf bank_mask:0xf// 000000005C84: 0B9F9EFA FF01570C
	v_mul_f32_e32 v204, v18, v204                              // 000000005C8C: 0B999912
	v_mul_f32_e32 v205, v18, v205                              // 000000005C90: 0B9B9B12
	v_mul_f32_e32 v206, v18, v206                              // 000000005C94: 0B9D9D12
	v_mul_f32_e32 v207, v18, v207                              // 000000005C98: 0B9F9F12
	v_mul_f32_e32 v208, v22, v208                              // 000000005C9C: 0BA1A116
	v_mul_f32_e32 v209, v22, v209                              // 000000005CA0: 0BA3A316
	v_mul_f32_e32 v210, v22, v210                              // 000000005CA4: 0BA5A516
	v_mul_f32_e32 v211, v22, v211                              // 000000005CA8: 0BA7A716
	v_mul_f32_dpp v208, v12, v208 row_newbcast:8 row_mask:0xf bank_mask:0xf// 000000005CAC: 0BA1A0FA FF01580C
	v_mul_f32_dpp v209, v12, v209 row_newbcast:9 row_mask:0xf bank_mask:0xf// 000000005CB4: 0BA3A2FA FF01590C
	v_mul_f32_dpp v210, v12, v210 row_newbcast:10 row_mask:0xf bank_mask:0xf// 000000005CBC: 0BA5A4FA FF015A0C
	v_mul_f32_dpp v211, v12, v211 row_newbcast:11 row_mask:0xf bank_mask:0xf// 000000005CC4: 0BA7A6FA FF015B0C
	v_mul_f32_e32 v208, v17, v208                              // 000000005CCC: 0BA1A111
	v_mul_f32_e32 v209, v17, v209                              // 000000005CD0: 0BA3A311
	v_mul_f32_e32 v210, v17, v210                              // 000000005CD4: 0BA5A511
	v_mul_f32_e32 v211, v17, v211                              // 000000005CD8: 0BA7A711
	v_mul_f32_e32 v212, v23, v212                              // 000000005CDC: 0BA9A917
	v_mul_f32_e32 v213, v23, v213                              // 000000005CE0: 0BABAB17
	v_mul_f32_e32 v214, v23, v214                              // 000000005CE4: 0BADAD17
	v_mul_f32_e32 v215, v23, v215                              // 000000005CE8: 0BAFAF17
	v_mul_f32_dpp v212, v12, v212 row_newbcast:8 row_mask:0xf bank_mask:0xf// 000000005CEC: 0BA9A8FA FF01580C
	v_mul_f32_dpp v213, v12, v213 row_newbcast:9 row_mask:0xf bank_mask:0xf// 000000005CF4: 0BABAAFA FF01590C
	v_mul_f32_dpp v214, v12, v214 row_newbcast:10 row_mask:0xf bank_mask:0xf// 000000005CFC: 0BADACFA FF015A0C
	v_mul_f32_dpp v215, v12, v215 row_newbcast:11 row_mask:0xf bank_mask:0xf// 000000005D04: 0BAFAEFA FF015B0C
	v_mul_f32_e32 v212, v18, v212                              // 000000005D0C: 0BA9A912
	v_mul_f32_e32 v213, v18, v213                              // 000000005D10: 0BABAB12
	v_mul_f32_e32 v214, v18, v214                              // 000000005D14: 0BADAD12
	v_mul_f32_e32 v215, v18, v215                              // 000000005D18: 0BAFAF12
	v_mul_f32_e32 v216, v22, v216                              // 000000005D1C: 0BB1B116
	v_mul_f32_e32 v217, v22, v217                              // 000000005D20: 0BB3B316
	v_mul_f32_e32 v218, v22, v218                              // 000000005D24: 0BB5B516
	v_mul_f32_e32 v219, v22, v219                              // 000000005D28: 0BB7B716
	v_mul_f32_dpp v216, v12, v216 row_newbcast:12 row_mask:0xf bank_mask:0xf// 000000005D2C: 0BB1B0FA FF015C0C
	v_mul_f32_dpp v217, v12, v217 row_newbcast:13 row_mask:0xf bank_mask:0xf// 000000005D34: 0BB3B2FA FF015D0C
	v_mul_f32_dpp v218, v12, v218 row_newbcast:14 row_mask:0xf bank_mask:0xf// 000000005D3C: 0BB5B4FA FF015E0C
	v_mul_f32_dpp v219, v12, v219 row_newbcast:15 row_mask:0xf bank_mask:0xf// 000000005D44: 0BB7B6FA FF015F0C
	v_mul_f32_e32 v216, v17, v216                              // 000000005D4C: 0BB1B111
	v_mul_f32_e32 v217, v17, v217                              // 000000005D50: 0BB3B311
	v_mul_f32_e32 v218, v17, v218                              // 000000005D54: 0BB5B511
	v_mul_f32_e32 v219, v17, v219                              // 000000005D58: 0BB7B711
	v_mul_f32_e32 v220, v23, v220                              // 000000005D5C: 0BB9B917
	v_mul_f32_e32 v221, v23, v221                              // 000000005D60: 0BBBBB17
	v_mul_f32_e32 v222, v23, v222                              // 000000005D64: 0BBDBD17
	v_mul_f32_e32 v223, v23, v223                              // 000000005D68: 0BBFBF17
	v_mul_f32_dpp v220, v12, v220 row_newbcast:12 row_mask:0xf bank_mask:0xf// 000000005D6C: 0BB9B8FA FF015C0C
	v_mul_f32_dpp v221, v12, v221 row_newbcast:13 row_mask:0xf bank_mask:0xf// 000000005D74: 0BBBBAFA FF015D0C
	v_mul_f32_dpp v222, v12, v222 row_newbcast:14 row_mask:0xf bank_mask:0xf// 000000005D7C: 0BBDBCFA FF015E0C
	v_mul_f32_dpp v223, v12, v223 row_newbcast:15 row_mask:0xf bank_mask:0xf// 000000005D84: 0BBFBEFA FF015F0C
	v_mul_f32_e32 v220, v18, v220                              // 000000005D8C: 0BB9B912
	v_mul_f32_e32 v221, v18, v221                              // 000000005D90: 0BBBBB12
	v_mul_f32_e32 v222, v18, v222                              // 000000005D94: 0BBDBD12
	v_mul_f32_e32 v223, v18, v223                              // 000000005D98: 0BBFBF12
	v_cvt_pkrtz_f16_f32 v192, v192, v193                       // 000000005D9C: D29600C0 000383C0
	v_cvt_pkrtz_f16_f32 v193, v194, v195                       // 000000005DA4: D29600C1 000387C2
	v_cvt_pkrtz_f16_f32 v194, v196, v197                       // 000000005DAC: D29600C2 00038BC4
	v_cvt_pkrtz_f16_f32 v195, v198, v199                       // 000000005DB4: D29600C3 00038FC6
	v_cvt_pkrtz_f16_f32 v196, v200, v201                       // 000000005DBC: D29600C4 000393C8
	v_cvt_pkrtz_f16_f32 v197, v202, v203                       // 000000005DC4: D29600C5 000397CA
	v_cvt_pkrtz_f16_f32 v198, v204, v205                       // 000000005DCC: D29600C6 00039BCC
	v_cvt_pkrtz_f16_f32 v199, v206, v207                       // 000000005DD4: D29600C7 00039FCE
	v_cvt_pkrtz_f16_f32 v200, v208, v209                       // 000000005DDC: D29600C8 0003A3D0
	v_cvt_pkrtz_f16_f32 v201, v210, v211                       // 000000005DE4: D29600C9 0003A7D2
	v_cvt_pkrtz_f16_f32 v202, v212, v213                       // 000000005DEC: D29600CA 0003ABD4
	v_cvt_pkrtz_f16_f32 v203, v214, v215                       // 000000005DF4: D29600CB 0003AFD6
	v_cvt_pkrtz_f16_f32 v204, v216, v217                       // 000000005DFC: D29600CC 0003B3D8
	v_cvt_pkrtz_f16_f32 v205, v218, v219                       // 000000005E04: D29600CD 0003B7DA
	v_cvt_pkrtz_f16_f32 v206, v220, v221                       // 000000005E0C: D29600CE 0003BBDC
	v_cvt_pkrtz_f16_f32 v207, v222, v223                       // 000000005E14: D29600CF 0003BFDE
	ds_write_b64 v3, v[192:193] offset:26880                   // 000000005E1C: D89A6900 0000C003
	ds_write_b64 v3, v[194:195] offset:35584                   // 000000005E24: D89A8B00 0000C203
	ds_write_b64 v3, v[196:197] offset:29056                   // 000000005E2C: D89A7180 0000C403
	ds_write_b64 v3, v[198:199] offset:37760                   // 000000005E34: D89A9380 0000C603
	ds_write_b64 v3, v[200:201] offset:31232                   // 000000005E3C: D89A7A00 0000C803
	ds_write_b64 v3, v[202:203] offset:39936                   // 000000005E44: D89A9C00 0000CA03
	ds_write_b64 v3, v[204:205] offset:33408                   // 000000005E4C: D89A8280 0000CC03
	ds_write_b64 v3, v[206:207] offset:42112                   // 000000005E54: D89AA480 0000CE03
	s_waitcnt lgkmcnt(0)                                       // 000000005E5C: BF8CC07F
	s_barrier                                                  // 000000005E60: BF8A0000
	ds_read_b32 v64, v4 offset:26880                           // 000000005E64: D86C6900 40000004
	ds_read_b32 v65, v4 offset:31232                           // 000000005E6C: D86C7A00 41000004
	ds_read_b32 v66, v4 offset:26912                           // 000000005E74: D86C6920 42000004
	ds_read_b32 v67, v4 offset:31264                           // 000000005E7C: D86C7A20 43000004
	ds_read_b32 v68, v4 offset:26944                           // 000000005E84: D86C6940 44000004
	ds_read_b32 v69, v4 offset:31296                           // 000000005E8C: D86C7A40 45000004
	ds_read_b32 v70, v4 offset:26976                           // 000000005E94: D86C6960 46000004
	ds_read_b32 v71, v4 offset:31328                           // 000000005E9C: D86C7A60 47000004
	ds_read_b32 v72, v4 offset:35584                           // 000000005EA4: D86C8B00 48000004
	ds_read_b32 v73, v4 offset:39936                           // 000000005EAC: D86C9C00 49000004
	ds_read_b32 v74, v4 offset:35616                           // 000000005EB4: D86C8B20 4A000004
	ds_read_b32 v75, v4 offset:39968                           // 000000005EBC: D86C9C20 4B000004
	ds_read_b32 v76, v4 offset:35648                           // 000000005EC4: D86C8B40 4C000004
	ds_read_b32 v77, v4 offset:40000                           // 000000005ECC: D86C9C40 4D000004
	ds_read_b32 v78, v4 offset:35680                           // 000000005ED4: D86C8B60 4E000004
	ds_read_b32 v79, v4 offset:40032                           // 000000005EDC: D86C9C60 4F000004
	s_waitcnt lgkmcnt(0)                                       // 000000005EE4: BF8CC07F
	s_mov_b64 exec, s[20:21]                                   // 000000005EE8: BEFE0114
	global_atomic_pk_add_f16 v80, v64, s[8:9]                  // 000000005EEC: DD388000 00084050
	s_mov_b64 exec, s[36:37]                                   // 000000005EF4: BEFE0124
	s_mov_b64 exec, s[20:21]                                   // 000000005EF8: BEFE0114
	global_atomic_pk_add_f16 v80, v65, s[8:9] offset:256       // 000000005EFC: DD388100 00084150
	s_mov_b64 exec, s[36:37]                                   // 000000005F04: BEFE0124
	s_mov_b64 exec, s[22:23]                                   // 000000005F08: BEFE0116
	global_atomic_pk_add_f16 v82, v66, s[8:9]                  // 000000005F0C: DD388000 00084252
	s_mov_b64 exec, s[36:37]                                   // 000000005F14: BEFE0124
	s_mov_b64 exec, s[22:23]                                   // 000000005F18: BEFE0116
	global_atomic_pk_add_f16 v82, v67, s[8:9] offset:256       // 000000005F1C: DD388100 00084352
	s_mov_b64 exec, s[36:37]                                   // 000000005F24: BEFE0124
	s_mov_b64 exec, s[24:25]                                   // 000000005F28: BEFE0118
	global_atomic_pk_add_f16 v84, v68, s[8:9]                  // 000000005F2C: DD388000 00084454
	s_mov_b64 exec, s[36:37]                                   // 000000005F34: BEFE0124
	s_mov_b64 exec, s[24:25]                                   // 000000005F38: BEFE0118
	global_atomic_pk_add_f16 v84, v69, s[8:9] offset:256       // 000000005F3C: DD388100 00084554
	s_mov_b64 exec, s[36:37]                                   // 000000005F44: BEFE0124
	s_mov_b64 exec, s[26:27]                                   // 000000005F48: BEFE011A
	global_atomic_pk_add_f16 v86, v70, s[8:9]                  // 000000005F4C: DD388000 00084656
	s_mov_b64 exec, s[36:37]                                   // 000000005F54: BEFE0124
	s_mov_b64 exec, s[26:27]                                   // 000000005F58: BEFE011A
	global_atomic_pk_add_f16 v86, v71, s[8:9] offset:256       // 000000005F5C: DD388100 00084756
	s_mov_b64 exec, s[36:37]                                   // 000000005F64: BEFE0124
	s_mov_b64 exec, s[28:29]                                   // 000000005F68: BEFE011C
	global_atomic_pk_add_f16 v88, v72, s[8:9]                  // 000000005F6C: DD388000 00084858
	s_mov_b64 exec, s[36:37]                                   // 000000005F74: BEFE0124
	s_mov_b64 exec, s[28:29]                                   // 000000005F78: BEFE011C
	global_atomic_pk_add_f16 v88, v73, s[8:9] offset:256       // 000000005F7C: DD388100 00084958
	s_mov_b64 exec, s[36:37]                                   // 000000005F84: BEFE0124
	s_mov_b64 exec, s[30:31]                                   // 000000005F88: BEFE011E
	global_atomic_pk_add_f16 v90, v74, s[8:9]                  // 000000005F8C: DD388000 00084A5A
	s_mov_b64 exec, s[36:37]                                   // 000000005F94: BEFE0124
	s_mov_b64 exec, s[30:31]                                   // 000000005F98: BEFE011E
	global_atomic_pk_add_f16 v90, v75, s[8:9] offset:256       // 000000005F9C: DD388100 00084B5A
	s_mov_b64 exec, s[36:37]                                   // 000000005FA4: BEFE0124
	s_mov_b64 exec, s[32:33]                                   // 000000005FA8: BEFE0120
	global_atomic_pk_add_f16 v92, v76, s[8:9]                  // 000000005FAC: DD388000 00084C5C
	s_mov_b64 exec, s[36:37]                                   // 000000005FB4: BEFE0124
	s_mov_b64 exec, s[32:33]                                   // 000000005FB8: BEFE0120
	global_atomic_pk_add_f16 v92, v77, s[8:9] offset:256       // 000000005FBC: DD388100 00084D5C
	s_mov_b64 exec, s[36:37]                                   // 000000005FC4: BEFE0124
	s_mov_b64 exec, s[34:35]                                   // 000000005FC8: BEFE0122
	global_atomic_pk_add_f16 v94, v78, s[8:9]                  // 000000005FCC: DD388000 00084E5E
	s_mov_b64 exec, s[36:37]                                   // 000000005FD4: BEFE0124
	s_mov_b64 exec, s[34:35]                                   // 000000005FD8: BEFE0122
	global_atomic_pk_add_f16 v94, v79, s[8:9] offset:256       // 000000005FDC: DD388100 00084F5E
	s_mov_b64 exec, s[36:37]                                   // 000000005FE4: BEFE0124
	s_add_u32 s8, s59, s8                                      // 000000005FE8: 8008083B
	s_addc_u32 s9, 0, s9                                       // 000000005FEC: 82090980
	s_addk_i32 s80, 0x100                                      // 000000005FF0: B7500100
	s_cmp_lt_i32 s80, s81                                      // 000000005FF4: BF045150
	s_cbranch_scc0 label_0C80                                  // 000000005FF8: BF840001
	s_branch label_08E1                                        // 000000005FFC: BF82FC61

0000000000006000 <label_0C80>:
	s_nop 0                                                    // 000000006000: BF800000
	s_nop 0                                                    // 000000006004: BF800000
	s_branch label_1695                                        // 000000006008: BF820A12

000000000000600c <label_0C83>:
	s_waitcnt vmcnt(8) lgkmcnt(0)                              // 00000000600C: BF8C0078
	s_barrier                                                  // 000000006010: BF8A0000
	v_mfma_f32_16x16x32_fp8_fp8 v[128:131], a[0:1], v[160:161], v[128:131]// 000000006014: D3F30080 0E034100
	buffer_load_dwordx4 a[64:67], v32, s[92:95], 0 offen       // 00000000601C: E05C1000 80974020
	v_mfma_f32_16x16x32_fp8_fp8 v[128:131], a[2:3], v[162:163], v[128:131]// 000000006024: D3F30080 0E034502
	v_mfma_f32_16x16x32_fp8_fp8 v[128:131], a[4:5], v[164:165], v[128:131]// 00000000602C: D3F30080 0E034904
	buffer_load_dword v24, s[20:23], 0 offen lds               // 000000006034: E0511000 80050018
	s_add_u32 m0, 0x100, s51                                   // 00000000603C: 807C33FF 00000100
	v_mfma_f32_16x16x32_fp8_fp8 v[128:131], a[6:7], v[166:167], v[128:131]// 000000006044: D3F30080 0E034D06
	v_mfma_f32_16x16x32_fp8_fp8 v[128:131], a[8:9], v[168:169], v[128:131]// 00000000604C: D3F30080 0E035108
	buffer_load_dwordx4 a[68:71], v32, s[92:95], 0 offen offset:1024// 000000006054: E05C1400 80974420
	v_mfma_f32_16x16x32_fp8_fp8 v[128:131], a[10:11], v[170:171], v[128:131]// 00000000605C: D3F30080 0E03550A
	v_mfma_f32_16x16x32_fp8_fp8 v[128:131], a[12:13], v[172:173], v[128:131]// 000000006064: D3F30080 0E03590C
	buffer_load_dword v25, s[20:23], 0 offen lds               // 00000000606C: E0511000 80050019
	s_add_u32 m0, 0x200, s51                                   // 000000006074: 807C33FF 00000200
	v_mfma_f32_16x16x32_fp8_fp8 v[128:131], a[14:15], v[174:175], v[128:131]// 00000000607C: D3F30080 0E035D0E
	v_mfma_f32_16x16x32_fp8_fp8 v[132:135], a[0:1], v[176:177], v[132:135]// 000000006084: D3F30084 0E136100
	buffer_load_dwordx4 a[72:75], v32, s[92:95], 0 offen offset:2048// 00000000608C: E05C1800 80974820
	v_mfma_f32_16x16x32_fp8_fp8 v[132:135], a[2:3], v[178:179], v[132:135]// 000000006094: D3F30084 0E136502
	v_mfma_f32_16x16x32_fp8_fp8 v[132:135], a[4:5], v[180:181], v[132:135]// 00000000609C: D3F30084 0E136904
	buffer_load_dword v26, s[20:23], 0 offen lds               // 0000000060A4: E0511000 8005001A
	s_add_u32 m0, 0x300, s51                                   // 0000000060AC: 807C33FF 00000300
	v_mfma_f32_16x16x32_fp8_fp8 v[132:135], a[6:7], v[182:183], v[132:135]// 0000000060B4: D3F30084 0E136D06
	v_mfma_f32_16x16x32_fp8_fp8 v[132:135], a[8:9], v[184:185], v[132:135]// 0000000060BC: D3F30084 0E137108
	buffer_load_dwordx4 a[76:79], v32, s[92:95], 0 offen offset:3072// 0000000060C4: E05C1C00 80974C20
	v_mfma_f32_16x16x32_fp8_fp8 v[132:135], a[10:11], v[186:187], v[132:135]// 0000000060CC: D3F30084 0E13750A
	v_mfma_f32_16x16x32_fp8_fp8 v[132:135], a[12:13], v[188:189], v[132:135]// 0000000060D4: D3F30084 0E13790C
	buffer_load_dword v27, s[20:23], 0 offen lds               // 0000000060DC: E0511000 8005001B
	s_add_u32 m0, 0x400, s51                                   // 0000000060E4: 807C33FF 00000400
	v_mfma_f32_16x16x32_fp8_fp8 v[132:135], a[14:15], v[190:191], v[132:135]// 0000000060EC: D3F30084 0E137D0E
	v_mfma_f32_16x16x32_fp8_fp8 v[136:139], a[16:17], v[160:161], v[136:139]// 0000000060F4: D3F30088 0E234110
	buffer_load_dwordx4 a[80:83], v33, s[92:95], 0 offen       // 0000000060FC: E05C1000 80975021
	v_mfma_f32_16x16x32_fp8_fp8 v[136:139], a[18:19], v[162:163], v[136:139]// 000000006104: D3F30088 0E234512
	v_mfma_f32_16x16x32_fp8_fp8 v[136:139], a[20:21], v[164:165], v[136:139]// 00000000610C: D3F30088 0E234914
	buffer_load_dword v28, s[20:23], 0 offen lds               // 000000006114: E0511000 8005001C
	s_add_u32 m0, 0x500, s51                                   // 00000000611C: 807C33FF 00000500
	v_mfma_f32_16x16x32_fp8_fp8 v[136:139], a[22:23], v[166:167], v[136:139]// 000000006124: D3F30088 0E234D16
	v_mfma_f32_16x16x32_fp8_fp8 v[136:139], a[24:25], v[168:169], v[136:139]// 00000000612C: D3F30088 0E235118
	buffer_load_dwordx4 a[84:87], v33, s[92:95], 0 offen offset:1024// 000000006134: E05C1400 80975421
	v_mfma_f32_16x16x32_fp8_fp8 v[136:139], a[26:27], v[170:171], v[136:139]// 00000000613C: D3F30088 0E23551A
	v_mfma_f32_16x16x32_fp8_fp8 v[136:139], a[28:29], v[172:173], v[136:139]// 000000006144: D3F30088 0E23591C
	buffer_load_dword v29, s[20:23], 0 offen lds               // 00000000614C: E0511000 8005001D
	s_add_u32 m0, 0x600, s51                                   // 000000006154: 807C33FF 00000600
	v_mfma_f32_16x16x32_fp8_fp8 v[136:139], a[30:31], v[174:175], v[136:139]// 00000000615C: D3F30088 0E235D1E
	v_mfma_f32_16x16x32_fp8_fp8 v[140:143], a[16:17], v[176:177], v[140:143]// 000000006164: D3F3008C 0E336110
	buffer_load_dwordx4 a[88:91], v33, s[92:95], 0 offen offset:2048// 00000000616C: E05C1800 80975821
	v_mfma_f32_16x16x32_fp8_fp8 v[140:143], a[18:19], v[178:179], v[140:143]// 000000006174: D3F3008C 0E336512
	v_mfma_f32_16x16x32_fp8_fp8 v[140:143], a[20:21], v[180:181], v[140:143]// 00000000617C: D3F3008C 0E336914
	buffer_load_dword v30, s[20:23], 0 offen lds               // 000000006184: E0511000 8005001E
	s_add_u32 m0, 0x700, s51                                   // 00000000618C: 807C33FF 00000700
	v_mfma_f32_16x16x32_fp8_fp8 v[140:143], a[22:23], v[182:183], v[140:143]// 000000006194: D3F3008C 0E336D16
	v_mfma_f32_16x16x32_fp8_fp8 v[140:143], a[24:25], v[184:185], v[140:143]// 00000000619C: D3F3008C 0E337118
	buffer_load_dwordx4 a[92:95], v33, s[92:95], 0 offen offset:3072// 0000000061A4: E05C1C00 80975C21
	v_mfma_f32_16x16x32_fp8_fp8 v[140:143], a[26:27], v[186:187], v[140:143]// 0000000061AC: D3F3008C 0E33751A
	v_mfma_f32_16x16x32_fp8_fp8 v[140:143], a[28:29], v[188:189], v[140:143]// 0000000061B4: D3F3008C 0E33791C
	buffer_load_dword v31, s[20:23], 0 offen lds               // 0000000061BC: E0511000 8005001F
	s_add_u32 m0, 0, s50                                       // 0000000061C4: 807C3280
	v_mfma_f32_16x16x32_fp8_fp8 v[140:143], a[30:31], v[190:191], v[140:143]// 0000000061C8: D3F3008C 0E337D1E
	s_waitcnt vmcnt(20)                                        // 0000000061D0: BF8C4F74
	v_mfma_f32_16x16x32_fp8_fp8 v[144:147], a[32:33], v[160:161], v[144:147]// 0000000061D4: D3F30090 0E434120
	buffer_load_dwordx4 a[96:99], v34, s[92:95], 0 offen       // 0000000061DC: E05C1000 80976022
	v_mfma_f32_16x16x32_fp8_fp8 v[144:147], a[34:35], v[162:163], v[144:147]// 0000000061E4: D3F30090 0E434522
	v_mfma_f32_16x16x32_fp8_fp8 v[144:147], a[36:37], v[164:165], v[144:147]// 0000000061EC: D3F30090 0E434924
	v_mfma_f32_16x16x32_fp8_fp8 v[144:147], a[38:39], v[166:167], v[144:147]// 0000000061F4: D3F30090 0E434D26
	v_mfma_f32_16x16x32_fp8_fp8 v[144:147], a[40:41], v[168:169], v[144:147]// 0000000061FC: D3F30090 0E435128
	buffer_load_dwordx4 a[100:103], v34, s[92:95], 0 offen offset:1024// 000000006204: E05C1400 80976422
	v_mfma_f32_16x16x32_fp8_fp8 v[144:147], a[42:43], v[170:171], v[144:147]// 00000000620C: D3F30090 0E43552A
	v_mfma_f32_16x16x32_fp8_fp8 v[144:147], a[44:45], v[172:173], v[144:147]// 000000006214: D3F30090 0E43592C
	v_mfma_f32_16x16x32_fp8_fp8 v[144:147], a[46:47], v[174:175], v[144:147]// 00000000621C: D3F30090 0E435D2E
	v_mfma_f32_16x16x32_fp8_fp8 v[148:151], a[32:33], v[176:177], v[148:151]// 000000006224: D3F30094 0E536120
	buffer_load_dwordx4 a[104:107], v34, s[92:95], 0 offen offset:2048// 00000000622C: E05C1800 80976822
	v_mfma_f32_16x16x32_fp8_fp8 v[148:151], a[34:35], v[178:179], v[148:151]// 000000006234: D3F30094 0E536522
	v_mfma_f32_16x16x32_fp8_fp8 v[148:151], a[36:37], v[180:181], v[148:151]// 00000000623C: D3F30094 0E536924
	v_mfma_f32_16x16x32_fp8_fp8 v[148:151], a[38:39], v[182:183], v[148:151]// 000000006244: D3F30094 0E536D26
	v_mfma_f32_16x16x32_fp8_fp8 v[148:151], a[40:41], v[184:185], v[148:151]// 00000000624C: D3F30094 0E537128
	buffer_load_dwordx4 a[108:111], v34, s[92:95], 0 offen offset:3072// 000000006254: E05C1C00 80976C22
	v_mfma_f32_16x16x32_fp8_fp8 v[148:151], a[42:43], v[186:187], v[148:151]// 00000000625C: D3F30094 0E53752A
	v_mfma_f32_16x16x32_fp8_fp8 v[148:151], a[44:45], v[188:189], v[148:151]// 000000006264: D3F30094 0E53792C
	v_mfma_f32_16x16x32_fp8_fp8 v[148:151], a[46:47], v[190:191], v[148:151]// 00000000626C: D3F30094 0E537D2E
	s_waitcnt vmcnt(20)                                        // 000000006274: BF8C4F74
	v_mfma_f32_16x16x32_fp8_fp8 v[152:155], a[48:49], v[160:161], v[152:155]// 000000006278: D3F30098 0E634130
	buffer_load_dwordx4 a[112:115], v35, s[92:95], 0 offen     // 000000006280: E05C1000 80977023
	v_mfma_f32_16x16x32_fp8_fp8 v[152:155], a[50:51], v[162:163], v[152:155]// 000000006288: D3F30098 0E634532
	v_mfma_f32_16x16x32_fp8_fp8 v[152:155], a[52:53], v[164:165], v[152:155]// 000000006290: D3F30098 0E634934
	v_mfma_f32_16x16x32_fp8_fp8 v[152:155], a[54:55], v[166:167], v[152:155]// 000000006298: D3F30098 0E634D36
	v_mfma_f32_16x16x32_fp8_fp8 v[152:155], a[56:57], v[168:169], v[152:155]// 0000000062A0: D3F30098 0E635138
	buffer_load_dwordx4 a[116:119], v35, s[92:95], 0 offen offset:1024// 0000000062A8: E05C1400 80977423
	v_mfma_f32_16x16x32_fp8_fp8 v[152:155], a[58:59], v[170:171], v[152:155]// 0000000062B0: D3F30098 0E63553A
	v_mfma_f32_16x16x32_fp8_fp8 v[152:155], a[60:61], v[172:173], v[152:155]// 0000000062B8: D3F30098 0E63593C
	v_mfma_f32_16x16x32_fp8_fp8 v[152:155], a[62:63], v[174:175], v[152:155]// 0000000062C0: D3F30098 0E635D3E
	v_mfma_f32_16x16x32_fp8_fp8 v[156:159], a[48:49], v[176:177], v[156:159]// 0000000062C8: D3F3009C 0E736130
	buffer_load_dwordx4 a[120:123], v35, s[92:95], 0 offen offset:2048// 0000000062D0: E05C1800 80977823
	v_mfma_f32_16x16x32_fp8_fp8 v[156:159], a[50:51], v[178:179], v[156:159]// 0000000062D8: D3F3009C 0E736532
	v_mfma_f32_16x16x32_fp8_fp8 v[156:159], a[52:53], v[180:181], v[156:159]// 0000000062E0: D3F3009C 0E736934
	v_mfma_f32_16x16x32_fp8_fp8 v[156:159], a[54:55], v[182:183], v[156:159]// 0000000062E8: D3F3009C 0E736D36
	v_mfma_f32_16x16x32_fp8_fp8 v[156:159], a[56:57], v[184:185], v[156:159]// 0000000062F0: D3F3009C 0E737138
	buffer_load_dwordx4 a[124:127], v35, s[92:95], 0 offen offset:3072// 0000000062F8: E05C1C00 80977C23
	v_mfma_f32_16x16x32_fp8_fp8 v[156:159], a[58:59], v[186:187], v[156:159]// 000000006300: D3F3009C 0E73753A
	v_mfma_f32_16x16x32_fp8_fp8 v[156:159], a[60:61], v[188:189], v[156:159]// 000000006308: D3F3009C 0E73793C
	v_mfma_f32_16x16x32_fp8_fp8 v[156:159], a[62:63], v[190:191], v[156:159]// 000000006310: D3F3009C 0E737D3E
	s_waitcnt vmcnt(8)                                         // 000000006318: BF8C0F78
	s_barrier                                                  // 00000000631C: BF8A0000
	v_mfma_f32_16x16x32_fp8_fp8 v[64:67], a[64:65], v[160:161], v[64:67]// 000000006320: D3F30040 0D034140
	buffer_load_dwordx4 a[0:3], v32, s[24:27], 0 offen         // 000000006328: E05C1000 80860020
	v_mfma_f32_16x16x32_fp8_fp8 v[64:67], a[66:67], v[162:163], v[64:67]// 000000006330: D3F30040 0D034542
	v_mfma_f32_16x16x32_fp8_fp8 v[64:67], a[68:69], v[164:165], v[64:67]// 000000006338: D3F30040 0D034944
	v_mfma_f32_16x16x32_fp8_fp8 v[64:67], a[70:71], v[166:167], v[64:67]// 000000006340: D3F30040 0D034D46
	v_mfma_f32_16x16x32_fp8_fp8 v[64:67], a[72:73], v[168:169], v[64:67]// 000000006348: D3F30040 0D035148
	buffer_load_dwordx4 a[4:7], v32, s[24:27], 0 offen offset:1024// 000000006350: E05C1400 80860420
	v_mfma_f32_16x16x32_fp8_fp8 v[64:67], a[74:75], v[170:171], v[64:67]// 000000006358: D3F30040 0D03554A
	v_mfma_f32_16x16x32_fp8_fp8 v[64:67], a[76:77], v[172:173], v[64:67]// 000000006360: D3F30040 0D03594C
	v_mfma_f32_16x16x32_fp8_fp8 v[64:67], a[78:79], v[174:175], v[64:67]// 000000006368: D3F30040 0D035D4E
	v_mfma_f32_16x16x32_fp8_fp8 v[68:71], a[64:65], v[176:177], v[68:71]// 000000006370: D3F30044 0D136140
	buffer_load_dwordx4 a[8:11], v32, s[24:27], 0 offen offset:2048// 000000006378: E05C1800 80860820
	v_mfma_f32_16x16x32_fp8_fp8 v[68:71], a[66:67], v[178:179], v[68:71]// 000000006380: D3F30044 0D136542
	v_mfma_f32_16x16x32_fp8_fp8 v[68:71], a[68:69], v[180:181], v[68:71]// 000000006388: D3F30044 0D136944
	v_mfma_f32_16x16x32_fp8_fp8 v[68:71], a[70:71], v[182:183], v[68:71]// 000000006390: D3F30044 0D136D46
	v_mfma_f32_16x16x32_fp8_fp8 v[68:71], a[72:73], v[184:185], v[68:71]// 000000006398: D3F30044 0D137148
	buffer_load_dwordx4 a[12:15], v32, s[24:27], 0 offen offset:3072// 0000000063A0: E05C1C00 80860C20
	v_mfma_f32_16x16x32_fp8_fp8 v[68:71], a[74:75], v[186:187], v[68:71]// 0000000063A8: D3F30044 0D13754A
	v_mfma_f32_16x16x32_fp8_fp8 v[68:71], a[76:77], v[188:189], v[68:71]// 0000000063B0: D3F30044 0D13794C
	v_mfma_f32_16x16x32_fp8_fp8 v[68:71], a[78:79], v[190:191], v[68:71]// 0000000063B8: D3F30044 0D137D4E
	v_mfma_f32_16x16x32_fp8_fp8 v[72:75], a[80:81], v[160:161], v[72:75]// 0000000063C0: D3F30048 0D234150
	buffer_load_dwordx4 a[16:19], v33, s[24:27], 0 offen       // 0000000063C8: E05C1000 80861021
	v_mfma_f32_16x16x32_fp8_fp8 v[72:75], a[82:83], v[162:163], v[72:75]// 0000000063D0: D3F30048 0D234552
	v_mfma_f32_16x16x32_fp8_fp8 v[72:75], a[84:85], v[164:165], v[72:75]// 0000000063D8: D3F30048 0D234954
	v_mfma_f32_16x16x32_fp8_fp8 v[72:75], a[86:87], v[166:167], v[72:75]// 0000000063E0: D3F30048 0D234D56
	v_mfma_f32_16x16x32_fp8_fp8 v[72:75], a[88:89], v[168:169], v[72:75]// 0000000063E8: D3F30048 0D235158
	buffer_load_dwordx4 a[20:23], v33, s[24:27], 0 offen offset:1024// 0000000063F0: E05C1400 80861421
	v_mfma_f32_16x16x32_fp8_fp8 v[72:75], a[90:91], v[170:171], v[72:75]// 0000000063F8: D3F30048 0D23555A
	v_mfma_f32_16x16x32_fp8_fp8 v[72:75], a[92:93], v[172:173], v[72:75]// 000000006400: D3F30048 0D23595C
	v_mfma_f32_16x16x32_fp8_fp8 v[72:75], a[94:95], v[174:175], v[72:75]// 000000006408: D3F30048 0D235D5E
	v_mfma_f32_16x16x32_fp8_fp8 v[76:79], a[80:81], v[176:177], v[76:79]// 000000006410: D3F3004C 0D336150
	buffer_load_dwordx4 a[24:27], v33, s[24:27], 0 offen offset:2048// 000000006418: E05C1800 80861821
	v_mfma_f32_16x16x32_fp8_fp8 v[76:79], a[82:83], v[178:179], v[76:79]// 000000006420: D3F3004C 0D336552
	v_mfma_f32_16x16x32_fp8_fp8 v[76:79], a[84:85], v[180:181], v[76:79]// 000000006428: D3F3004C 0D336954
	v_mfma_f32_16x16x32_fp8_fp8 v[76:79], a[86:87], v[182:183], v[76:79]// 000000006430: D3F3004C 0D336D56
	v_mfma_f32_16x16x32_fp8_fp8 v[76:79], a[88:89], v[184:185], v[76:79]// 000000006438: D3F3004C 0D337158
	buffer_load_dwordx4 a[28:31], v33, s[24:27], 0 offen offset:3072// 000000006440: E05C1C00 80861C21
	v_mfma_f32_16x16x32_fp8_fp8 v[76:79], a[90:91], v[186:187], v[76:79]// 000000006448: D3F3004C 0D33755A
	v_mfma_f32_16x16x32_fp8_fp8 v[76:79], a[92:93], v[188:189], v[76:79]// 000000006450: D3F3004C 0D33795C
	v_mfma_f32_16x16x32_fp8_fp8 v[76:79], a[94:95], v[190:191], v[76:79]// 000000006458: D3F3004C 0D337D5E
	s_waitcnt vmcnt(12)                                        // 000000006460: BF8C0F7C
	v_mfma_f32_16x16x32_fp8_fp8 v[80:83], a[96:97], v[160:161], v[80:83]// 000000006464: D3F30050 0D434160
	buffer_load_dwordx4 a[32:35], v34, s[24:27], 0 offen       // 00000000646C: E05C1000 80862022
	v_mfma_f32_16x16x32_fp8_fp8 v[80:83], a[98:99], v[162:163], v[80:83]// 000000006474: D3F30050 0D434562
	v_mfma_f32_16x16x32_fp8_fp8 v[80:83], a[100:101], v[164:165], v[80:83]// 00000000647C: D3F30050 0D434964
	ds_read_b128 v[192:195], v2 offset:8320                    // 000000006484: D9FE2080 C0000002
	v_mfma_f32_16x16x32_fp8_fp8 v[80:83], a[102:103], v[166:167], v[80:83]// 00000000648C: D3F30050 0D434D66
	v_mfma_f32_16x16x32_fp8_fp8 v[80:83], a[104:105], v[168:169], v[80:83]// 000000006494: D3F30050 0D435168
	buffer_load_dwordx4 a[36:39], v34, s[24:27], 0 offen offset:1024// 00000000649C: E05C1400 80862422
	v_mfma_f32_16x16x32_fp8_fp8 v[80:83], a[106:107], v[170:171], v[80:83]// 0000000064A4: D3F30050 0D43556A
	v_mfma_f32_16x16x32_fp8_fp8 v[80:83], a[108:109], v[172:173], v[80:83]// 0000000064AC: D3F30050 0D43596C
	ds_read_b128 v[196:199], v2 offset:8384                    // 0000000064B4: D9FE20C0 C4000002
	v_mfma_f32_16x16x32_fp8_fp8 v[80:83], a[110:111], v[174:175], v[80:83]// 0000000064BC: D3F30050 0D435D6E
	v_mfma_f32_16x16x32_fp8_fp8 v[84:87], a[96:97], v[176:177], v[84:87]// 0000000064C4: D3F30054 0D536160
	buffer_load_dwordx4 a[40:43], v34, s[24:27], 0 offen offset:2048// 0000000064CC: E05C1800 80862822
	v_mfma_f32_16x16x32_fp8_fp8 v[84:87], a[98:99], v[178:179], v[84:87]// 0000000064D4: D3F30054 0D536562
	v_mfma_f32_16x16x32_fp8_fp8 v[84:87], a[100:101], v[180:181], v[84:87]// 0000000064DC: D3F30054 0D536964
	ds_read_b128 v[200:203], v2 offset:8448                    // 0000000064E4: D9FE2100 C8000002
	v_mfma_f32_16x16x32_fp8_fp8 v[84:87], a[102:103], v[182:183], v[84:87]// 0000000064EC: D3F30054 0D536D66
	v_mfma_f32_16x16x32_fp8_fp8 v[84:87], a[104:105], v[184:185], v[84:87]// 0000000064F4: D3F30054 0D537168
	buffer_load_dwordx4 a[44:47], v34, s[24:27], 0 offen offset:3072// 0000000064FC: E05C1C00 80862C22
	v_mfma_f32_16x16x32_fp8_fp8 v[84:87], a[106:107], v[186:187], v[84:87]// 000000006504: D3F30054 0D53756A
	v_mfma_f32_16x16x32_fp8_fp8 v[84:87], a[108:109], v[188:189], v[84:87]// 00000000650C: D3F30054 0D53796C
	ds_read_b128 v[204:207], v2 offset:8512                    // 000000006514: D9FE2140 CC000002
	v_mfma_f32_16x16x32_fp8_fp8 v[84:87], a[110:111], v[190:191], v[84:87]// 00000000651C: D3F30054 0D537D6E
	s_waitcnt vmcnt(12)                                        // 000000006524: BF8C0F7C
	v_mfma_f32_16x16x32_fp8_fp8 v[88:91], a[112:113], v[160:161], v[88:91]// 000000006528: D3F30058 0D634170
	buffer_load_dwordx4 a[48:51], v35, s[24:27], 0 offen       // 000000006530: E05C1000 80863023
	v_mfma_f32_16x16x32_fp8_fp8 v[88:91], a[114:115], v[162:163], v[88:91]// 000000006538: D3F30058 0D634572
	v_mfma_f32_16x16x32_fp8_fp8 v[88:91], a[116:117], v[164:165], v[88:91]// 000000006540: D3F30058 0D634974
	ds_read_b128 v[208:211], v2 offset:9344                    // 000000006548: D9FE2480 D0000002
	v_mfma_f32_16x16x32_fp8_fp8 v[88:91], a[118:119], v[166:167], v[88:91]// 000000006550: D3F30058 0D634D76
	v_mfma_f32_16x16x32_fp8_fp8 v[88:91], a[120:121], v[168:169], v[88:91]// 000000006558: D3F30058 0D635178
	buffer_load_dwordx4 a[52:55], v35, s[24:27], 0 offen offset:1024// 000000006560: E05C1400 80863423
	v_mfma_f32_16x16x32_fp8_fp8 v[88:91], a[122:123], v[170:171], v[88:91]// 000000006568: D3F30058 0D63557A
	v_mfma_f32_16x16x32_fp8_fp8 v[88:91], a[124:125], v[172:173], v[88:91]// 000000006570: D3F30058 0D63597C
	ds_read_b128 v[212:215], v2 offset:9408                    // 000000006578: D9FE24C0 D4000002
	v_mfma_f32_16x16x32_fp8_fp8 v[88:91], a[126:127], v[174:175], v[88:91]// 000000006580: D3F30058 0D635D7E
	v_mfma_f32_16x16x32_fp8_fp8 v[92:95], a[112:113], v[176:177], v[92:95]// 000000006588: D3F3005C 0D736170
	buffer_load_dwordx4 a[56:59], v35, s[24:27], 0 offen offset:2048// 000000006590: E05C1800 80863823
	v_mfma_f32_16x16x32_fp8_fp8 v[92:95], a[114:115], v[178:179], v[92:95]// 000000006598: D3F3005C 0D736572
	v_mfma_f32_16x16x32_fp8_fp8 v[92:95], a[116:117], v[180:181], v[92:95]// 0000000065A0: D3F3005C 0D736974
	ds_read_b128 v[216:219], v2 offset:9472                    // 0000000065A8: D9FE2500 D8000002
	v_mfma_f32_16x16x32_fp8_fp8 v[92:95], a[118:119], v[182:183], v[92:95]// 0000000065B0: D3F3005C 0D736D76
	v_mfma_f32_16x16x32_fp8_fp8 v[92:95], a[120:121], v[184:185], v[92:95]// 0000000065B8: D3F3005C 0D737178
	buffer_load_dwordx4 a[60:63], v35, s[24:27], 0 offen offset:3072// 0000000065C0: E05C1C00 80863C23
	v_mfma_f32_16x16x32_fp8_fp8 v[92:95], a[122:123], v[186:187], v[92:95]// 0000000065C8: D3F3005C 0D73757A
	v_mfma_f32_16x16x32_fp8_fp8 v[92:95], a[124:125], v[188:189], v[92:95]// 0000000065D0: D3F3005C 0D73797C
	ds_read_b128 v[220:223], v2 offset:9536                    // 0000000065D8: D9FE2540 DC000002
	v_mfma_f32_16x16x32_fp8_fp8 v[92:95], a[126:127], v[190:191], v[92:95]// 0000000065E0: D3F3005C 0D737D7E
	s_add_u32 s60, 0x200, s80                                  // 0000000065E8: 803C50FF 00000200
	s_cmp_lt_u32 s60, s81                                      // 0000000065F0: BF0A513C
	s_cselect_b32 s57, s57, 0                                  // 0000000065F4: 85398039
	s_add_u32 s60, 0x200, s80                                  // 0000000065F8: 803C50FF 00000200
	s_cmp_lt_u32 s60, s81                                      // 000000006600: BF0A513C
	s_cselect_b32 s58, s58, 0                                  // 000000006604: 853A803A
	s_add_u32 s20, s57, s20                                    // 000000006608: 80141439
	s_addc_u32 s21, 0, s21                                     // 00000000660C: 82151580
	s_add_u32 s24, s58, s24                                    // 000000006610: 8018183A
	s_addc_u32 s25, 0, s25                                     // 000000006614: 82191980
	s_add_u32 s92, s90, s92                                    // 000000006618: 805C5C5A
	s_addc_u32 s93, 0, s93                                     // 00000000661C: 825D5D80
	s_addk_i32 s80, 0x100                                      // 000000006620: B7500100
	s_cmp_lt_i32 s80, s81                                      // 000000006624: BF045150
	s_cbranch_scc0 label_0F94                                  // 000000006628: BF840189
	s_waitcnt vmcnt(8) lgkmcnt(0)                              // 00000000662C: BF8C0078
	s_barrier                                                  // 000000006630: BF8A0000
	v_mfma_f32_16x16x32_fp8_fp8 v[128:131], a[0:1], v[192:193], v[128:131]// 000000006634: D3F30080 0E038100
	buffer_load_dwordx4 a[64:67], v32, s[92:95], 0 offen       // 00000000663C: E05C1000 80974020
	v_mfma_f32_16x16x32_fp8_fp8 v[128:131], a[2:3], v[194:195], v[128:131]// 000000006644: D3F30080 0E038502
	v_mfma_f32_16x16x32_fp8_fp8 v[128:131], a[4:5], v[196:197], v[128:131]// 00000000664C: D3F30080 0E038904
	buffer_load_dword v24, s[20:23], 0 offen lds               // 000000006654: E0511000 80050018
	s_add_u32 m0, 0x100, s50                                   // 00000000665C: 807C32FF 00000100
	v_mfma_f32_16x16x32_fp8_fp8 v[128:131], a[6:7], v[198:199], v[128:131]// 000000006664: D3F30080 0E038D06
	v_mfma_f32_16x16x32_fp8_fp8 v[128:131], a[8:9], v[200:201], v[128:131]// 00000000666C: D3F30080 0E039108
	buffer_load_dwordx4 a[68:71], v32, s[92:95], 0 offen offset:1024// 000000006674: E05C1400 80974420
	v_mfma_f32_16x16x32_fp8_fp8 v[128:131], a[10:11], v[202:203], v[128:131]// 00000000667C: D3F30080 0E03950A
	v_mfma_f32_16x16x32_fp8_fp8 v[128:131], a[12:13], v[204:205], v[128:131]// 000000006684: D3F30080 0E03990C
	buffer_load_dword v25, s[20:23], 0 offen lds               // 00000000668C: E0511000 80050019
	s_add_u32 m0, 0x200, s50                                   // 000000006694: 807C32FF 00000200
	v_mfma_f32_16x16x32_fp8_fp8 v[128:131], a[14:15], v[206:207], v[128:131]// 00000000669C: D3F30080 0E039D0E
	v_mfma_f32_16x16x32_fp8_fp8 v[132:135], a[0:1], v[208:209], v[132:135]// 0000000066A4: D3F30084 0E13A100
	buffer_load_dwordx4 a[72:75], v32, s[92:95], 0 offen offset:2048// 0000000066AC: E05C1800 80974820
	v_mfma_f32_16x16x32_fp8_fp8 v[132:135], a[2:3], v[210:211], v[132:135]// 0000000066B4: D3F30084 0E13A502
	v_mfma_f32_16x16x32_fp8_fp8 v[132:135], a[4:5], v[212:213], v[132:135]// 0000000066BC: D3F30084 0E13A904
	buffer_load_dword v26, s[20:23], 0 offen lds               // 0000000066C4: E0511000 8005001A
	s_add_u32 m0, 0x300, s50                                   // 0000000066CC: 807C32FF 00000300
	v_mfma_f32_16x16x32_fp8_fp8 v[132:135], a[6:7], v[214:215], v[132:135]// 0000000066D4: D3F30084 0E13AD06
	v_mfma_f32_16x16x32_fp8_fp8 v[132:135], a[8:9], v[216:217], v[132:135]// 0000000066DC: D3F30084 0E13B108
	buffer_load_dwordx4 a[76:79], v32, s[92:95], 0 offen offset:3072// 0000000066E4: E05C1C00 80974C20
	v_mfma_f32_16x16x32_fp8_fp8 v[132:135], a[10:11], v[218:219], v[132:135]// 0000000066EC: D3F30084 0E13B50A
	v_mfma_f32_16x16x32_fp8_fp8 v[132:135], a[12:13], v[220:221], v[132:135]// 0000000066F4: D3F30084 0E13B90C
	buffer_load_dword v27, s[20:23], 0 offen lds               // 0000000066FC: E0511000 8005001B
	s_add_u32 m0, 0x400, s50                                   // 000000006704: 807C32FF 00000400
	v_mfma_f32_16x16x32_fp8_fp8 v[132:135], a[14:15], v[222:223], v[132:135]// 00000000670C: D3F30084 0E13BD0E
	v_mfma_f32_16x16x32_fp8_fp8 v[136:139], a[16:17], v[192:193], v[136:139]// 000000006714: D3F30088 0E238110
	buffer_load_dwordx4 a[80:83], v33, s[92:95], 0 offen       // 00000000671C: E05C1000 80975021
	v_mfma_f32_16x16x32_fp8_fp8 v[136:139], a[18:19], v[194:195], v[136:139]// 000000006724: D3F30088 0E238512
	v_mfma_f32_16x16x32_fp8_fp8 v[136:139], a[20:21], v[196:197], v[136:139]// 00000000672C: D3F30088 0E238914
	buffer_load_dword v28, s[20:23], 0 offen lds               // 000000006734: E0511000 8005001C
	s_add_u32 m0, 0x500, s50                                   // 00000000673C: 807C32FF 00000500
	v_mfma_f32_16x16x32_fp8_fp8 v[136:139], a[22:23], v[198:199], v[136:139]// 000000006744: D3F30088 0E238D16
	v_mfma_f32_16x16x32_fp8_fp8 v[136:139], a[24:25], v[200:201], v[136:139]// 00000000674C: D3F30088 0E239118
	buffer_load_dwordx4 a[84:87], v33, s[92:95], 0 offen offset:1024// 000000006754: E05C1400 80975421
	v_mfma_f32_16x16x32_fp8_fp8 v[136:139], a[26:27], v[202:203], v[136:139]// 00000000675C: D3F30088 0E23951A
	v_mfma_f32_16x16x32_fp8_fp8 v[136:139], a[28:29], v[204:205], v[136:139]// 000000006764: D3F30088 0E23991C
	buffer_load_dword v29, s[20:23], 0 offen lds               // 00000000676C: E0511000 8005001D
	s_add_u32 m0, 0x600, s50                                   // 000000006774: 807C32FF 00000600
	v_mfma_f32_16x16x32_fp8_fp8 v[136:139], a[30:31], v[206:207], v[136:139]// 00000000677C: D3F30088 0E239D1E
	v_mfma_f32_16x16x32_fp8_fp8 v[140:143], a[16:17], v[208:209], v[140:143]// 000000006784: D3F3008C 0E33A110
	buffer_load_dwordx4 a[88:91], v33, s[92:95], 0 offen offset:2048// 00000000678C: E05C1800 80975821
	v_mfma_f32_16x16x32_fp8_fp8 v[140:143], a[18:19], v[210:211], v[140:143]// 000000006794: D3F3008C 0E33A512
	v_mfma_f32_16x16x32_fp8_fp8 v[140:143], a[20:21], v[212:213], v[140:143]// 00000000679C: D3F3008C 0E33A914
	buffer_load_dword v30, s[20:23], 0 offen lds               // 0000000067A4: E0511000 8005001E
	s_add_u32 m0, 0x700, s50                                   // 0000000067AC: 807C32FF 00000700
	v_mfma_f32_16x16x32_fp8_fp8 v[140:143], a[22:23], v[214:215], v[140:143]// 0000000067B4: D3F3008C 0E33AD16
	v_mfma_f32_16x16x32_fp8_fp8 v[140:143], a[24:25], v[216:217], v[140:143]// 0000000067BC: D3F3008C 0E33B118
	buffer_load_dwordx4 a[92:95], v33, s[92:95], 0 offen offset:3072// 0000000067C4: E05C1C00 80975C21
	v_mfma_f32_16x16x32_fp8_fp8 v[140:143], a[26:27], v[218:219], v[140:143]// 0000000067CC: D3F3008C 0E33B51A
	v_mfma_f32_16x16x32_fp8_fp8 v[140:143], a[28:29], v[220:221], v[140:143]// 0000000067D4: D3F3008C 0E33B91C
	buffer_load_dword v31, s[20:23], 0 offen lds               // 0000000067DC: E0511000 8005001F
	s_add_u32 m0, 0, s51                                       // 0000000067E4: 807C3380
	v_mfma_f32_16x16x32_fp8_fp8 v[140:143], a[30:31], v[222:223], v[140:143]// 0000000067E8: D3F3008C 0E33BD1E
	s_waitcnt vmcnt(20)                                        // 0000000067F0: BF8C4F74
	v_mfma_f32_16x16x32_fp8_fp8 v[144:147], a[32:33], v[192:193], v[144:147]// 0000000067F4: D3F30090 0E438120
	buffer_load_dwordx4 a[96:99], v34, s[92:95], 0 offen       // 0000000067FC: E05C1000 80976022
	v_mfma_f32_16x16x32_fp8_fp8 v[144:147], a[34:35], v[194:195], v[144:147]// 000000006804: D3F30090 0E438522
	v_mfma_f32_16x16x32_fp8_fp8 v[144:147], a[36:37], v[196:197], v[144:147]// 00000000680C: D3F30090 0E438924
	v_mfma_f32_16x16x32_fp8_fp8 v[144:147], a[38:39], v[198:199], v[144:147]// 000000006814: D3F30090 0E438D26
	v_mfma_f32_16x16x32_fp8_fp8 v[144:147], a[40:41], v[200:201], v[144:147]// 00000000681C: D3F30090 0E439128
	buffer_load_dwordx4 a[100:103], v34, s[92:95], 0 offen offset:1024// 000000006824: E05C1400 80976422
	v_mfma_f32_16x16x32_fp8_fp8 v[144:147], a[42:43], v[202:203], v[144:147]// 00000000682C: D3F30090 0E43952A
	v_mfma_f32_16x16x32_fp8_fp8 v[144:147], a[44:45], v[204:205], v[144:147]// 000000006834: D3F30090 0E43992C
	v_mfma_f32_16x16x32_fp8_fp8 v[144:147], a[46:47], v[206:207], v[144:147]// 00000000683C: D3F30090 0E439D2E
	v_mfma_f32_16x16x32_fp8_fp8 v[148:151], a[32:33], v[208:209], v[148:151]// 000000006844: D3F30094 0E53A120
	buffer_load_dwordx4 a[104:107], v34, s[92:95], 0 offen offset:2048// 00000000684C: E05C1800 80976822
	v_mfma_f32_16x16x32_fp8_fp8 v[148:151], a[34:35], v[210:211], v[148:151]// 000000006854: D3F30094 0E53A522
	v_mfma_f32_16x16x32_fp8_fp8 v[148:151], a[36:37], v[212:213], v[148:151]// 00000000685C: D3F30094 0E53A924
	v_mfma_f32_16x16x32_fp8_fp8 v[148:151], a[38:39], v[214:215], v[148:151]// 000000006864: D3F30094 0E53AD26
	v_mfma_f32_16x16x32_fp8_fp8 v[148:151], a[40:41], v[216:217], v[148:151]// 00000000686C: D3F30094 0E53B128
	buffer_load_dwordx4 a[108:111], v34, s[92:95], 0 offen offset:3072// 000000006874: E05C1C00 80976C22
	v_mfma_f32_16x16x32_fp8_fp8 v[148:151], a[42:43], v[218:219], v[148:151]// 00000000687C: D3F30094 0E53B52A
	v_mfma_f32_16x16x32_fp8_fp8 v[148:151], a[44:45], v[220:221], v[148:151]// 000000006884: D3F30094 0E53B92C
	v_mfma_f32_16x16x32_fp8_fp8 v[148:151], a[46:47], v[222:223], v[148:151]// 00000000688C: D3F30094 0E53BD2E
	s_waitcnt vmcnt(20)                                        // 000000006894: BF8C4F74
	v_mfma_f32_16x16x32_fp8_fp8 v[152:155], a[48:49], v[192:193], v[152:155]// 000000006898: D3F30098 0E638130
	buffer_load_dwordx4 a[112:115], v35, s[92:95], 0 offen     // 0000000068A0: E05C1000 80977023
	v_mfma_f32_16x16x32_fp8_fp8 v[152:155], a[50:51], v[194:195], v[152:155]// 0000000068A8: D3F30098 0E638532
	v_mfma_f32_16x16x32_fp8_fp8 v[152:155], a[52:53], v[196:197], v[152:155]// 0000000068B0: D3F30098 0E638934
	v_mfma_f32_16x16x32_fp8_fp8 v[152:155], a[54:55], v[198:199], v[152:155]// 0000000068B8: D3F30098 0E638D36
	v_mfma_f32_16x16x32_fp8_fp8 v[152:155], a[56:57], v[200:201], v[152:155]// 0000000068C0: D3F30098 0E639138
	buffer_load_dwordx4 a[116:119], v35, s[92:95], 0 offen offset:1024// 0000000068C8: E05C1400 80977423
	v_mfma_f32_16x16x32_fp8_fp8 v[152:155], a[58:59], v[202:203], v[152:155]// 0000000068D0: D3F30098 0E63953A
	v_mfma_f32_16x16x32_fp8_fp8 v[152:155], a[60:61], v[204:205], v[152:155]// 0000000068D8: D3F30098 0E63993C
	v_mfma_f32_16x16x32_fp8_fp8 v[152:155], a[62:63], v[206:207], v[152:155]// 0000000068E0: D3F30098 0E639D3E
	v_mfma_f32_16x16x32_fp8_fp8 v[156:159], a[48:49], v[208:209], v[156:159]// 0000000068E8: D3F3009C 0E73A130
	buffer_load_dwordx4 a[120:123], v35, s[92:95], 0 offen offset:2048// 0000000068F0: E05C1800 80977823
	v_mfma_f32_16x16x32_fp8_fp8 v[156:159], a[50:51], v[210:211], v[156:159]// 0000000068F8: D3F3009C 0E73A532
	v_mfma_f32_16x16x32_fp8_fp8 v[156:159], a[52:53], v[212:213], v[156:159]// 000000006900: D3F3009C 0E73A934
	v_mfma_f32_16x16x32_fp8_fp8 v[156:159], a[54:55], v[214:215], v[156:159]// 000000006908: D3F3009C 0E73AD36
	v_mfma_f32_16x16x32_fp8_fp8 v[156:159], a[56:57], v[216:217], v[156:159]// 000000006910: D3F3009C 0E73B138
	buffer_load_dwordx4 a[124:127], v35, s[92:95], 0 offen offset:3072// 000000006918: E05C1C00 80977C23
	v_mfma_f32_16x16x32_fp8_fp8 v[156:159], a[58:59], v[218:219], v[156:159]// 000000006920: D3F3009C 0E73B53A
	v_mfma_f32_16x16x32_fp8_fp8 v[156:159], a[60:61], v[220:221], v[156:159]// 000000006928: D3F3009C 0E73B93C
	v_mfma_f32_16x16x32_fp8_fp8 v[156:159], a[62:63], v[222:223], v[156:159]// 000000006930: D3F3009C 0E73BD3E
	s_waitcnt vmcnt(8)                                         // 000000006938: BF8C0F78
	s_barrier                                                  // 00000000693C: BF8A0000
	v_mfma_f32_16x16x32_fp8_fp8 v[64:67], a[64:65], v[192:193], v[64:67]// 000000006940: D3F30040 0D038140
	buffer_load_dwordx4 a[0:3], v32, s[24:27], 0 offen         // 000000006948: E05C1000 80860020
	v_mfma_f32_16x16x32_fp8_fp8 v[64:67], a[66:67], v[194:195], v[64:67]// 000000006950: D3F30040 0D038542
	v_mfma_f32_16x16x32_fp8_fp8 v[64:67], a[68:69], v[196:197], v[64:67]// 000000006958: D3F30040 0D038944
	v_mfma_f32_16x16x32_fp8_fp8 v[64:67], a[70:71], v[198:199], v[64:67]// 000000006960: D3F30040 0D038D46
	v_mfma_f32_16x16x32_fp8_fp8 v[64:67], a[72:73], v[200:201], v[64:67]// 000000006968: D3F30040 0D039148
	buffer_load_dwordx4 a[4:7], v32, s[24:27], 0 offen offset:1024// 000000006970: E05C1400 80860420
	v_mfma_f32_16x16x32_fp8_fp8 v[64:67], a[74:75], v[202:203], v[64:67]// 000000006978: D3F30040 0D03954A
	v_mfma_f32_16x16x32_fp8_fp8 v[64:67], a[76:77], v[204:205], v[64:67]// 000000006980: D3F30040 0D03994C
	v_mfma_f32_16x16x32_fp8_fp8 v[64:67], a[78:79], v[206:207], v[64:67]// 000000006988: D3F30040 0D039D4E
	v_mfma_f32_16x16x32_fp8_fp8 v[68:71], a[64:65], v[208:209], v[68:71]// 000000006990: D3F30044 0D13A140
	buffer_load_dwordx4 a[8:11], v32, s[24:27], 0 offen offset:2048// 000000006998: E05C1800 80860820
	v_mfma_f32_16x16x32_fp8_fp8 v[68:71], a[66:67], v[210:211], v[68:71]// 0000000069A0: D3F30044 0D13A542
	v_mfma_f32_16x16x32_fp8_fp8 v[68:71], a[68:69], v[212:213], v[68:71]// 0000000069A8: D3F30044 0D13A944
	v_mfma_f32_16x16x32_fp8_fp8 v[68:71], a[70:71], v[214:215], v[68:71]// 0000000069B0: D3F30044 0D13AD46
	v_mfma_f32_16x16x32_fp8_fp8 v[68:71], a[72:73], v[216:217], v[68:71]// 0000000069B8: D3F30044 0D13B148
	buffer_load_dwordx4 a[12:15], v32, s[24:27], 0 offen offset:3072// 0000000069C0: E05C1C00 80860C20
	v_mfma_f32_16x16x32_fp8_fp8 v[68:71], a[74:75], v[218:219], v[68:71]// 0000000069C8: D3F30044 0D13B54A
	v_mfma_f32_16x16x32_fp8_fp8 v[68:71], a[76:77], v[220:221], v[68:71]// 0000000069D0: D3F30044 0D13B94C
	v_mfma_f32_16x16x32_fp8_fp8 v[68:71], a[78:79], v[222:223], v[68:71]// 0000000069D8: D3F30044 0D13BD4E
	v_mfma_f32_16x16x32_fp8_fp8 v[72:75], a[80:81], v[192:193], v[72:75]// 0000000069E0: D3F30048 0D238150
	buffer_load_dwordx4 a[16:19], v33, s[24:27], 0 offen       // 0000000069E8: E05C1000 80861021
	v_mfma_f32_16x16x32_fp8_fp8 v[72:75], a[82:83], v[194:195], v[72:75]// 0000000069F0: D3F30048 0D238552
	v_mfma_f32_16x16x32_fp8_fp8 v[72:75], a[84:85], v[196:197], v[72:75]// 0000000069F8: D3F30048 0D238954
	v_mfma_f32_16x16x32_fp8_fp8 v[72:75], a[86:87], v[198:199], v[72:75]// 000000006A00: D3F30048 0D238D56
	v_mfma_f32_16x16x32_fp8_fp8 v[72:75], a[88:89], v[200:201], v[72:75]// 000000006A08: D3F30048 0D239158
	buffer_load_dwordx4 a[20:23], v33, s[24:27], 0 offen offset:1024// 000000006A10: E05C1400 80861421
	v_mfma_f32_16x16x32_fp8_fp8 v[72:75], a[90:91], v[202:203], v[72:75]// 000000006A18: D3F30048 0D23955A
	v_mfma_f32_16x16x32_fp8_fp8 v[72:75], a[92:93], v[204:205], v[72:75]// 000000006A20: D3F30048 0D23995C
	v_mfma_f32_16x16x32_fp8_fp8 v[72:75], a[94:95], v[206:207], v[72:75]// 000000006A28: D3F30048 0D239D5E
	v_mfma_f32_16x16x32_fp8_fp8 v[76:79], a[80:81], v[208:209], v[76:79]// 000000006A30: D3F3004C 0D33A150
	buffer_load_dwordx4 a[24:27], v33, s[24:27], 0 offen offset:2048// 000000006A38: E05C1800 80861821
	v_mfma_f32_16x16x32_fp8_fp8 v[76:79], a[82:83], v[210:211], v[76:79]// 000000006A40: D3F3004C 0D33A552
	v_mfma_f32_16x16x32_fp8_fp8 v[76:79], a[84:85], v[212:213], v[76:79]// 000000006A48: D3F3004C 0D33A954
	v_mfma_f32_16x16x32_fp8_fp8 v[76:79], a[86:87], v[214:215], v[76:79]// 000000006A50: D3F3004C 0D33AD56
	v_mfma_f32_16x16x32_fp8_fp8 v[76:79], a[88:89], v[216:217], v[76:79]// 000000006A58: D3F3004C 0D33B158
	buffer_load_dwordx4 a[28:31], v33, s[24:27], 0 offen offset:3072// 000000006A60: E05C1C00 80861C21
	v_mfma_f32_16x16x32_fp8_fp8 v[76:79], a[90:91], v[218:219], v[76:79]// 000000006A68: D3F3004C 0D33B55A
	v_mfma_f32_16x16x32_fp8_fp8 v[76:79], a[92:93], v[220:221], v[76:79]// 000000006A70: D3F3004C 0D33B95C
	v_mfma_f32_16x16x32_fp8_fp8 v[76:79], a[94:95], v[222:223], v[76:79]// 000000006A78: D3F3004C 0D33BD5E
	s_waitcnt vmcnt(12)                                        // 000000006A80: BF8C0F7C
	v_mfma_f32_16x16x32_fp8_fp8 v[80:83], a[96:97], v[192:193], v[80:83]// 000000006A84: D3F30050 0D438160
	buffer_load_dwordx4 a[32:35], v34, s[24:27], 0 offen       // 000000006A8C: E05C1000 80862022
	v_mfma_f32_16x16x32_fp8_fp8 v[80:83], a[98:99], v[194:195], v[80:83]// 000000006A94: D3F30050 0D438562
	v_mfma_f32_16x16x32_fp8_fp8 v[80:83], a[100:101], v[196:197], v[80:83]// 000000006A9C: D3F30050 0D438964
	ds_read_b128 v[160:163], v2                                // 000000006AA4: D9FE0000 A0000002
	v_mfma_f32_16x16x32_fp8_fp8 v[80:83], a[102:103], v[198:199], v[80:83]// 000000006AAC: D3F30050 0D438D66
	v_mfma_f32_16x16x32_fp8_fp8 v[80:83], a[104:105], v[200:201], v[80:83]// 000000006AB4: D3F30050 0D439168
	buffer_load_dwordx4 a[36:39], v34, s[24:27], 0 offen offset:1024// 000000006ABC: E05C1400 80862422
	v_mfma_f32_16x16x32_fp8_fp8 v[80:83], a[106:107], v[202:203], v[80:83]// 000000006AC4: D3F30050 0D43956A
	v_mfma_f32_16x16x32_fp8_fp8 v[80:83], a[108:109], v[204:205], v[80:83]// 000000006ACC: D3F30050 0D43996C
	ds_read_b128 v[164:167], v2 offset:64                      // 000000006AD4: D9FE0040 A4000002
	v_mfma_f32_16x16x32_fp8_fp8 v[80:83], a[110:111], v[206:207], v[80:83]// 000000006ADC: D3F30050 0D439D6E
	v_mfma_f32_16x16x32_fp8_fp8 v[84:87], a[96:97], v[208:209], v[84:87]// 000000006AE4: D3F30054 0D53A160
	buffer_load_dwordx4 a[40:43], v34, s[24:27], 0 offen offset:2048// 000000006AEC: E05C1800 80862822
	v_mfma_f32_16x16x32_fp8_fp8 v[84:87], a[98:99], v[210:211], v[84:87]// 000000006AF4: D3F30054 0D53A562
	v_mfma_f32_16x16x32_fp8_fp8 v[84:87], a[100:101], v[212:213], v[84:87]// 000000006AFC: D3F30054 0D53A964
	ds_read_b128 v[168:171], v2 offset:128                     // 000000006B04: D9FE0080 A8000002
	v_mfma_f32_16x16x32_fp8_fp8 v[84:87], a[102:103], v[214:215], v[84:87]// 000000006B0C: D3F30054 0D53AD66
	v_mfma_f32_16x16x32_fp8_fp8 v[84:87], a[104:105], v[216:217], v[84:87]// 000000006B14: D3F30054 0D53B168
	buffer_load_dwordx4 a[44:47], v34, s[24:27], 0 offen offset:3072// 000000006B1C: E05C1C00 80862C22
	v_mfma_f32_16x16x32_fp8_fp8 v[84:87], a[106:107], v[218:219], v[84:87]// 000000006B24: D3F30054 0D53B56A
	v_mfma_f32_16x16x32_fp8_fp8 v[84:87], a[108:109], v[220:221], v[84:87]// 000000006B2C: D3F30054 0D53B96C
	ds_read_b128 v[172:175], v2 offset:192                     // 000000006B34: D9FE00C0 AC000002
	v_mfma_f32_16x16x32_fp8_fp8 v[84:87], a[110:111], v[222:223], v[84:87]// 000000006B3C: D3F30054 0D53BD6E
	s_waitcnt vmcnt(12)                                        // 000000006B44: BF8C0F7C
	v_mfma_f32_16x16x32_fp8_fp8 v[88:91], a[112:113], v[192:193], v[88:91]// 000000006B48: D3F30058 0D638170
	buffer_load_dwordx4 a[48:51], v35, s[24:27], 0 offen       // 000000006B50: E05C1000 80863023
	v_mfma_f32_16x16x32_fp8_fp8 v[88:91], a[114:115], v[194:195], v[88:91]// 000000006B58: D3F30058 0D638572
	v_mfma_f32_16x16x32_fp8_fp8 v[88:91], a[116:117], v[196:197], v[88:91]// 000000006B60: D3F30058 0D638974
	ds_read_b128 v[176:179], v2 offset:1024                    // 000000006B68: D9FE0400 B0000002
	v_mfma_f32_16x16x32_fp8_fp8 v[88:91], a[118:119], v[198:199], v[88:91]// 000000006B70: D3F30058 0D638D76
	v_mfma_f32_16x16x32_fp8_fp8 v[88:91], a[120:121], v[200:201], v[88:91]// 000000006B78: D3F30058 0D639178
	buffer_load_dwordx4 a[52:55], v35, s[24:27], 0 offen offset:1024// 000000006B80: E05C1400 80863423
	v_mfma_f32_16x16x32_fp8_fp8 v[88:91], a[122:123], v[202:203], v[88:91]// 000000006B88: D3F30058 0D63957A
	v_mfma_f32_16x16x32_fp8_fp8 v[88:91], a[124:125], v[204:205], v[88:91]// 000000006B90: D3F30058 0D63997C
	ds_read_b128 v[180:183], v2 offset:1088                    // 000000006B98: D9FE0440 B4000002
	v_mfma_f32_16x16x32_fp8_fp8 v[88:91], a[126:127], v[206:207], v[88:91]// 000000006BA0: D3F30058 0D639D7E
	v_mfma_f32_16x16x32_fp8_fp8 v[92:95], a[112:113], v[208:209], v[92:95]// 000000006BA8: D3F3005C 0D73A170
	buffer_load_dwordx4 a[56:59], v35, s[24:27], 0 offen offset:2048// 000000006BB0: E05C1800 80863823
	v_mfma_f32_16x16x32_fp8_fp8 v[92:95], a[114:115], v[210:211], v[92:95]// 000000006BB8: D3F3005C 0D73A572
	v_mfma_f32_16x16x32_fp8_fp8 v[92:95], a[116:117], v[212:213], v[92:95]// 000000006BC0: D3F3005C 0D73A974
	ds_read_b128 v[184:187], v2 offset:1152                    // 000000006BC8: D9FE0480 B8000002
	v_mfma_f32_16x16x32_fp8_fp8 v[92:95], a[118:119], v[214:215], v[92:95]// 000000006BD0: D3F3005C 0D73AD76
	v_mfma_f32_16x16x32_fp8_fp8 v[92:95], a[120:121], v[216:217], v[92:95]// 000000006BD8: D3F3005C 0D73B178
	buffer_load_dwordx4 a[60:63], v35, s[24:27], 0 offen offset:3072// 000000006BE0: E05C1C00 80863C23
	v_mfma_f32_16x16x32_fp8_fp8 v[92:95], a[122:123], v[218:219], v[92:95]// 000000006BE8: D3F3005C 0D73B57A
	v_mfma_f32_16x16x32_fp8_fp8 v[92:95], a[124:125], v[220:221], v[92:95]// 000000006BF0: D3F3005C 0D73B97C
	ds_read_b128 v[188:191], v2 offset:1216                    // 000000006BF8: D9FE04C0 BC000002
	v_mfma_f32_16x16x32_fp8_fp8 v[92:95], a[126:127], v[222:223], v[92:95]// 000000006C00: D3F3005C 0D73BD7E
	s_add_u32 s60, 0x200, s80                                  // 000000006C08: 803C50FF 00000200
	s_cmp_lt_u32 s60, s81                                      // 000000006C10: BF0A513C
	s_cselect_b32 s57, s57, 0                                  // 000000006C14: 85398039
	s_add_u32 s60, 0x200, s80                                  // 000000006C18: 803C50FF 00000200
	s_cmp_lt_u32 s60, s81                                      // 000000006C20: BF0A513C
	s_cselect_b32 s58, s58, 0                                  // 000000006C24: 853A803A
	s_add_u32 s20, s57, s20                                    // 000000006C28: 80141439
	s_addc_u32 s21, 0, s21                                     // 000000006C2C: 82151580
	s_add_u32 s24, s58, s24                                    // 000000006C30: 8018183A
	s_addc_u32 s25, 0, s25                                     // 000000006C34: 82191980
	s_add_u32 s92, s90, s92                                    // 000000006C38: 805C5C5A
	s_addc_u32 s93, 0, s93                                     // 000000006C3C: 825D5D80
	s_addk_i32 s80, 0x100                                      // 000000006C40: B7500100
	s_cmp_lt_i32 s80, s81                                      // 000000006C44: BF045150
	s_cbranch_scc0 label_0F94                                  // 000000006C48: BF840001
	s_branch label_0C83                                        // 000000006C4C: BF82FCEF

0000000000006c50 <label_0F94>:
	s_mov_b32 s36, -1                                          // 000000006C50: BEA400C1
	s_mov_b32 s37, -1                                          // 000000006C54: BEA500C1
	s_mov_b64 s[60:61], 0                                      // 000000006C58: BEBC0180
	s_cmp_lt_u32 s82, s66                                      // 000000006C5C: BF0A4252
	s_cselect_b64 s[20:21], s[36:37], s[60:61]                 // 000000006C60: 85943C24
	s_cmp_lt_u32 s83, s66                                      // 000000006C64: BF0A4253
	s_cselect_b64 s[22:23], s[36:37], s[60:61]                 // 000000006C68: 85963C24
	s_cmp_lt_u32 s84, s66                                      // 000000006C6C: BF0A4254
	s_cselect_b64 s[24:25], s[36:37], s[60:61]                 // 000000006C70: 85983C24
	s_cmp_lt_u32 s85, s66                                      // 000000006C74: BF0A4255
	s_cselect_b64 s[26:27], s[36:37], s[60:61]                 // 000000006C78: 859A3C24
	s_cmp_lt_u32 s86, s66                                      // 000000006C7C: BF0A4256
	s_cselect_b64 s[28:29], s[36:37], s[60:61]                 // 000000006C80: 859C3C24
	s_cmp_lt_u32 s87, s66                                      // 000000006C84: BF0A4257
	s_cselect_b64 s[30:31], s[36:37], s[60:61]                 // 000000006C88: 859E3C24
	s_cmp_lt_u32 s88, s66                                      // 000000006C8C: BF0A4258
	s_cselect_b64 s[32:33], s[36:37], s[60:61]                 // 000000006C90: 85A03C24
	s_cmp_lt_u32 s89, s66                                      // 000000006C94: BF0A4259
	s_cselect_b64 s[34:35], s[36:37], s[60:61]                 // 000000006C98: 85A23C24
	v_mul_f32_e32 v128, v13, v128                              // 000000006C9C: 0B01010D
	v_mul_f32_e32 v129, v13, v129                              // 000000006CA0: 0B03030D
	v_mul_f32_e32 v130, v13, v130                              // 000000006CA4: 0B05050D
	v_mul_f32_e32 v131, v13, v131                              // 000000006CA8: 0B07070D
	v_mul_f32_dpp v128, v15, v128 row_newbcast:0 row_mask:0xf bank_mask:0xf// 000000006CAC: 0B0100FA FF01500F
	v_mul_f32_dpp v129, v15, v129 row_newbcast:1 row_mask:0xf bank_mask:0xf// 000000006CB4: 0B0302FA FF01510F
	v_mul_f32_dpp v130, v15, v130 row_newbcast:2 row_mask:0xf bank_mask:0xf// 000000006CBC: 0B0504FA FF01520F
	v_mul_f32_dpp v131, v15, v131 row_newbcast:3 row_mask:0xf bank_mask:0xf// 000000006CC4: 0B0706FA FF01530F
	v_mul_f32_e32 v132, v14, v132                              // 000000006CCC: 0B09090E
	v_mul_f32_e32 v133, v14, v133                              // 000000006CD0: 0B0B0B0E
	v_mul_f32_e32 v134, v14, v134                              // 000000006CD4: 0B0D0D0E
	v_mul_f32_e32 v135, v14, v135                              // 000000006CD8: 0B0F0F0E
	v_mul_f32_dpp v132, v15, v132 row_newbcast:0 row_mask:0xf bank_mask:0xf// 000000006CDC: 0B0908FA FF01500F
	v_mul_f32_dpp v133, v15, v133 row_newbcast:1 row_mask:0xf bank_mask:0xf// 000000006CE4: 0B0B0AFA FF01510F
	v_mul_f32_dpp v134, v15, v134 row_newbcast:2 row_mask:0xf bank_mask:0xf// 000000006CEC: 0B0D0CFA FF01520F
	v_mul_f32_dpp v135, v15, v135 row_newbcast:3 row_mask:0xf bank_mask:0xf// 000000006CF4: 0B0F0EFA FF01530F
	v_mul_f32_e32 v136, v13, v136                              // 000000006CFC: 0B11110D
	v_mul_f32_e32 v137, v13, v137                              // 000000006D00: 0B13130D
	v_mul_f32_e32 v138, v13, v138                              // 000000006D04: 0B15150D
	v_mul_f32_e32 v139, v13, v139                              // 000000006D08: 0B17170D
	v_mul_f32_dpp v136, v15, v136 row_newbcast:4 row_mask:0xf bank_mask:0xf// 000000006D0C: 0B1110FA FF01540F
	v_mul_f32_dpp v137, v15, v137 row_newbcast:5 row_mask:0xf bank_mask:0xf// 000000006D14: 0B1312FA FF01550F
	v_mul_f32_dpp v138, v15, v138 row_newbcast:6 row_mask:0xf bank_mask:0xf// 000000006D1C: 0B1514FA FF01560F
	v_mul_f32_dpp v139, v15, v139 row_newbcast:7 row_mask:0xf bank_mask:0xf// 000000006D24: 0B1716FA FF01570F
	v_mul_f32_e32 v140, v14, v140                              // 000000006D2C: 0B19190E
	v_mul_f32_e32 v141, v14, v141                              // 000000006D30: 0B1B1B0E
	v_mul_f32_e32 v142, v14, v142                              // 000000006D34: 0B1D1D0E
	v_mul_f32_e32 v143, v14, v143                              // 000000006D38: 0B1F1F0E
	v_mul_f32_dpp v140, v15, v140 row_newbcast:4 row_mask:0xf bank_mask:0xf// 000000006D3C: 0B1918FA FF01540F
	v_mul_f32_dpp v141, v15, v141 row_newbcast:5 row_mask:0xf bank_mask:0xf// 000000006D44: 0B1B1AFA FF01550F
	v_mul_f32_dpp v142, v15, v142 row_newbcast:6 row_mask:0xf bank_mask:0xf// 000000006D4C: 0B1D1CFA FF01560F
	v_mul_f32_dpp v143, v15, v143 row_newbcast:7 row_mask:0xf bank_mask:0xf// 000000006D54: 0B1F1EFA FF01570F
	v_mul_f32_e32 v144, v13, v144                              // 000000006D5C: 0B21210D
	v_mul_f32_e32 v145, v13, v145                              // 000000006D60: 0B23230D
	v_mul_f32_e32 v146, v13, v146                              // 000000006D64: 0B25250D
	v_mul_f32_e32 v147, v13, v147                              // 000000006D68: 0B27270D
	v_mul_f32_dpp v144, v15, v144 row_newbcast:8 row_mask:0xf bank_mask:0xf// 000000006D6C: 0B2120FA FF01580F
	v_mul_f32_dpp v145, v15, v145 row_newbcast:9 row_mask:0xf bank_mask:0xf// 000000006D74: 0B2322FA FF01590F
	v_mul_f32_dpp v146, v15, v146 row_newbcast:10 row_mask:0xf bank_mask:0xf// 000000006D7C: 0B2524FA FF015A0F
	v_mul_f32_dpp v147, v15, v147 row_newbcast:11 row_mask:0xf bank_mask:0xf// 000000006D84: 0B2726FA FF015B0F
	v_mul_f32_e32 v148, v14, v148                              // 000000006D8C: 0B29290E
	v_mul_f32_e32 v149, v14, v149                              // 000000006D90: 0B2B2B0E
	v_mul_f32_e32 v150, v14, v150                              // 000000006D94: 0B2D2D0E
	v_mul_f32_e32 v151, v14, v151                              // 000000006D98: 0B2F2F0E
	v_mul_f32_dpp v148, v15, v148 row_newbcast:8 row_mask:0xf bank_mask:0xf// 000000006D9C: 0B2928FA FF01580F
	v_mul_f32_dpp v149, v15, v149 row_newbcast:9 row_mask:0xf bank_mask:0xf// 000000006DA4: 0B2B2AFA FF01590F
	v_mul_f32_dpp v150, v15, v150 row_newbcast:10 row_mask:0xf bank_mask:0xf// 000000006DAC: 0B2D2CFA FF015A0F
	v_mul_f32_dpp v151, v15, v151 row_newbcast:11 row_mask:0xf bank_mask:0xf// 000000006DB4: 0B2F2EFA FF015B0F
	v_mul_f32_e32 v152, v13, v152                              // 000000006DBC: 0B31310D
	v_mul_f32_e32 v153, v13, v153                              // 000000006DC0: 0B33330D
	v_mul_f32_e32 v154, v13, v154                              // 000000006DC4: 0B35350D
	v_mul_f32_e32 v155, v13, v155                              // 000000006DC8: 0B37370D
	v_mul_f32_dpp v152, v15, v152 row_newbcast:12 row_mask:0xf bank_mask:0xf// 000000006DCC: 0B3130FA FF015C0F
	v_mul_f32_dpp v153, v15, v153 row_newbcast:13 row_mask:0xf bank_mask:0xf// 000000006DD4: 0B3332FA FF015D0F
	v_mul_f32_dpp v154, v15, v154 row_newbcast:14 row_mask:0xf bank_mask:0xf// 000000006DDC: 0B3534FA FF015E0F
	v_mul_f32_dpp v155, v15, v155 row_newbcast:15 row_mask:0xf bank_mask:0xf// 000000006DE4: 0B3736FA FF015F0F
	v_mul_f32_e32 v156, v14, v156                              // 000000006DEC: 0B39390E
	v_mul_f32_e32 v157, v14, v157                              // 000000006DF0: 0B3B3B0E
	v_mul_f32_e32 v158, v14, v158                              // 000000006DF4: 0B3D3D0E
	v_mul_f32_e32 v159, v14, v159                              // 000000006DF8: 0B3F3F0E
	v_mul_f32_dpp v156, v15, v156 row_newbcast:12 row_mask:0xf bank_mask:0xf// 000000006DFC: 0B3938FA FF015C0F
	v_mul_f32_dpp v157, v15, v157 row_newbcast:13 row_mask:0xf bank_mask:0xf// 000000006E04: 0B3B3AFA FF015D0F
	v_mul_f32_dpp v158, v15, v158 row_newbcast:14 row_mask:0xf bank_mask:0xf// 000000006E0C: 0B3D3CFA FF015E0F
	v_mul_f32_dpp v159, v15, v159 row_newbcast:15 row_mask:0xf bank_mask:0xf// 000000006E14: 0B3F3EFA FF015F0F
	v_mul_f32_e32 v64, v13, v64                                // 000000006E1C: 0A80810D
	v_mul_f32_e32 v65, v13, v65                                // 000000006E20: 0A82830D
	v_mul_f32_e32 v66, v13, v66                                // 000000006E24: 0A84850D
	v_mul_f32_e32 v67, v13, v67                                // 000000006E28: 0A86870D
	v_mul_f32_dpp v64, v44, v64 row_newbcast:0 row_mask:0xf bank_mask:0xf// 000000006E2C: 0A8080FA FF01502C
	v_mul_f32_dpp v65, v44, v65 row_newbcast:1 row_mask:0xf bank_mask:0xf// 000000006E34: 0A8282FA FF01512C
	v_mul_f32_dpp v66, v44, v66 row_newbcast:2 row_mask:0xf bank_mask:0xf// 000000006E3C: 0A8484FA FF01522C
	v_mul_f32_dpp v67, v44, v67 row_newbcast:3 row_mask:0xf bank_mask:0xf// 000000006E44: 0A8686FA FF01532C
	v_mul_f32_e32 v68, v14, v68                                // 000000006E4C: 0A88890E
	v_mul_f32_e32 v69, v14, v69                                // 000000006E50: 0A8A8B0E
	v_mul_f32_e32 v70, v14, v70                                // 000000006E54: 0A8C8D0E
	v_mul_f32_e32 v71, v14, v71                                // 000000006E58: 0A8E8F0E
	v_mul_f32_dpp v68, v44, v68 row_newbcast:0 row_mask:0xf bank_mask:0xf// 000000006E5C: 0A8888FA FF01502C
	v_mul_f32_dpp v69, v44, v69 row_newbcast:1 row_mask:0xf bank_mask:0xf// 000000006E64: 0A8A8AFA FF01512C
	v_mul_f32_dpp v70, v44, v70 row_newbcast:2 row_mask:0xf bank_mask:0xf// 000000006E6C: 0A8C8CFA FF01522C
	v_mul_f32_dpp v71, v44, v71 row_newbcast:3 row_mask:0xf bank_mask:0xf// 000000006E74: 0A8E8EFA FF01532C
	v_mul_f32_e32 v72, v13, v72                                // 000000006E7C: 0A90910D
	v_mul_f32_e32 v73, v13, v73                                // 000000006E80: 0A92930D
	v_mul_f32_e32 v74, v13, v74                                // 000000006E84: 0A94950D
	v_mul_f32_e32 v75, v13, v75                                // 000000006E88: 0A96970D
	v_mul_f32_dpp v72, v44, v72 row_newbcast:4 row_mask:0xf bank_mask:0xf// 000000006E8C: 0A9090FA FF01542C
	v_mul_f32_dpp v73, v44, v73 row_newbcast:5 row_mask:0xf bank_mask:0xf// 000000006E94: 0A9292FA FF01552C
	v_mul_f32_dpp v74, v44, v74 row_newbcast:6 row_mask:0xf bank_mask:0xf// 000000006E9C: 0A9494FA FF01562C
	v_mul_f32_dpp v75, v44, v75 row_newbcast:7 row_mask:0xf bank_mask:0xf// 000000006EA4: 0A9696FA FF01572C
	v_mul_f32_e32 v76, v14, v76                                // 000000006EAC: 0A98990E
	v_mul_f32_e32 v77, v14, v77                                // 000000006EB0: 0A9A9B0E
	v_mul_f32_e32 v78, v14, v78                                // 000000006EB4: 0A9C9D0E
	v_mul_f32_e32 v79, v14, v79                                // 000000006EB8: 0A9E9F0E
	v_mul_f32_dpp v76, v44, v76 row_newbcast:4 row_mask:0xf bank_mask:0xf// 000000006EBC: 0A9898FA FF01542C
	v_mul_f32_dpp v77, v44, v77 row_newbcast:5 row_mask:0xf bank_mask:0xf// 000000006EC4: 0A9A9AFA FF01552C
	v_mul_f32_dpp v78, v44, v78 row_newbcast:6 row_mask:0xf bank_mask:0xf// 000000006ECC: 0A9C9CFA FF01562C
	v_mul_f32_dpp v79, v44, v79 row_newbcast:7 row_mask:0xf bank_mask:0xf// 000000006ED4: 0A9E9EFA FF01572C
	v_mul_f32_e32 v80, v13, v80                                // 000000006EDC: 0AA0A10D
	v_mul_f32_e32 v81, v13, v81                                // 000000006EE0: 0AA2A30D
	v_mul_f32_e32 v82, v13, v82                                // 000000006EE4: 0AA4A50D
	v_mul_f32_e32 v83, v13, v83                                // 000000006EE8: 0AA6A70D
	v_mul_f32_dpp v80, v44, v80 row_newbcast:8 row_mask:0xf bank_mask:0xf// 000000006EEC: 0AA0A0FA FF01582C
	v_mul_f32_dpp v81, v44, v81 row_newbcast:9 row_mask:0xf bank_mask:0xf// 000000006EF4: 0AA2A2FA FF01592C
	v_mul_f32_dpp v82, v44, v82 row_newbcast:10 row_mask:0xf bank_mask:0xf// 000000006EFC: 0AA4A4FA FF015A2C
	v_mul_f32_dpp v83, v44, v83 row_newbcast:11 row_mask:0xf bank_mask:0xf// 000000006F04: 0AA6A6FA FF015B2C
	v_mul_f32_e32 v84, v14, v84                                // 000000006F0C: 0AA8A90E
	v_mul_f32_e32 v85, v14, v85                                // 000000006F10: 0AAAAB0E
	v_mul_f32_e32 v86, v14, v86                                // 000000006F14: 0AACAD0E
	v_mul_f32_e32 v87, v14, v87                                // 000000006F18: 0AAEAF0E
	v_mul_f32_dpp v84, v44, v84 row_newbcast:8 row_mask:0xf bank_mask:0xf// 000000006F1C: 0AA8A8FA FF01582C
	v_mul_f32_dpp v85, v44, v85 row_newbcast:9 row_mask:0xf bank_mask:0xf// 000000006F24: 0AAAAAFA FF01592C
	v_mul_f32_dpp v86, v44, v86 row_newbcast:10 row_mask:0xf bank_mask:0xf// 000000006F2C: 0AACACFA FF015A2C
	v_mul_f32_dpp v87, v44, v87 row_newbcast:11 row_mask:0xf bank_mask:0xf// 000000006F34: 0AAEAEFA FF015B2C
	v_mul_f32_e32 v88, v13, v88                                // 000000006F3C: 0AB0B10D
	v_mul_f32_e32 v89, v13, v89                                // 000000006F40: 0AB2B30D
	v_mul_f32_e32 v90, v13, v90                                // 000000006F44: 0AB4B50D
	v_mul_f32_e32 v91, v13, v91                                // 000000006F48: 0AB6B70D
	v_mul_f32_dpp v88, v44, v88 row_newbcast:12 row_mask:0xf bank_mask:0xf// 000000006F4C: 0AB0B0FA FF015C2C
	v_mul_f32_dpp v89, v44, v89 row_newbcast:13 row_mask:0xf bank_mask:0xf// 000000006F54: 0AB2B2FA FF015D2C
	v_mul_f32_dpp v90, v44, v90 row_newbcast:14 row_mask:0xf bank_mask:0xf// 000000006F5C: 0AB4B4FA FF015E2C
	v_mul_f32_dpp v91, v44, v91 row_newbcast:15 row_mask:0xf bank_mask:0xf// 000000006F64: 0AB6B6FA FF015F2C
	v_mul_f32_e32 v92, v14, v92                                // 000000006F6C: 0AB8B90E
	v_mul_f32_e32 v93, v14, v93                                // 000000006F70: 0ABABB0E
	v_mul_f32_e32 v94, v14, v94                                // 000000006F74: 0ABCBD0E
	v_mul_f32_e32 v95, v14, v95                                // 000000006F78: 0ABEBF0E
	v_mul_f32_dpp v92, v44, v92 row_newbcast:12 row_mask:0xf bank_mask:0xf// 000000006F7C: 0AB8B8FA FF015C2C
	v_mul_f32_dpp v93, v44, v93 row_newbcast:13 row_mask:0xf bank_mask:0xf// 000000006F84: 0ABABAFA FF015D2C
	v_mul_f32_dpp v94, v44, v94 row_newbcast:14 row_mask:0xf bank_mask:0xf// 000000006F8C: 0ABCBCFA FF015E2C
	v_mul_f32_dpp v95, v44, v95 row_newbcast:15 row_mask:0xf bank_mask:0xf// 000000006F94: 0ABEBEFA FF015F2C
	s_waitcnt vmcnt(12)                                        // 000000006F9C: BF8C0F7C
	buffer_load_dwordx4 a[0:3], v36, s[12:15], 0 offen         // 000000006FA0: E05C1000 80830024
	v_mul_f32_e64 v46, -v128, s6                               // 000000006FA8: D105002E 20000D80
	v_mul_f32_e64 v47, -v129, s6                               // 000000006FB0: D105002F 20000D81
	v_mul_f32_e64 v48, -v130, s6                               // 000000006FB8: D1050030 20000D82
	v_mul_f32_e64 v49, -v131, s6                               // 000000006FC0: D1050031 20000D83
	v_exp_f32_e32 v46, v46                                     // 000000006FC8: 7E5C412E
	v_exp_f32_e32 v47, v47                                     // 000000006FCC: 7E5E412F
	v_exp_f32_e32 v48, v48                                     // 000000006FD0: 7E604130
	v_exp_f32_e32 v49, v49                                     // 000000006FD4: 7E624131
	buffer_load_dwordx4 a[4:7], v37, s[12:15], 0 offen         // 000000006FD8: E05C1000 80830425
	v_add_f32_e64 v46, v46, 1.0                                // 000000006FE0: D101002E 0001E52E
	v_add_f32_e64 v47, v47, 1.0                                // 000000006FE8: D101002F 0001E52F
	v_add_f32_e64 v48, v48, 1.0                                // 000000006FF0: D1010030 0001E530
	v_add_f32_e64 v49, v49, 1.0                                // 000000006FF8: D1010031 0001E531
	v_rcp_f32_e32 v46, v46                                     // 000000007000: 7E5C452E
	v_rcp_f32_e32 v47, v47                                     // 000000007004: 7E5E452F
	v_rcp_f32_e32 v48, v48                                     // 000000007008: 7E604530
	v_rcp_f32_e32 v49, v49                                     // 00000000700C: 7E624531
	v_mul_f32_e32 v128, v128, v46                              // 000000007010: 0B005D80
	v_mul_f32_e32 v129, v129, v47                              // 000000007014: 0B025F81
	v_mul_f32_e32 v130, v130, v48                              // 000000007018: 0B046182
	v_mul_f32_e32 v131, v131, v49                              // 00000000701C: 0B066383
	v_mul_f32_e32 v128, v128, v64                              // 000000007020: 0B008180
	v_mul_f32_e32 v129, v129, v65                              // 000000007024: 0B028381
	v_mul_f32_e32 v130, v130, v66                              // 000000007028: 0B048582
	v_mul_f32_e32 v131, v131, v67                              // 00000000702C: 0B068783
	buffer_load_dwordx4 a[8:11], v38, s[12:15], 0 offen        // 000000007030: E05C1000 80830826
	v_mul_f32_e64 v46, -v132, s6                               // 000000007038: D105002E 20000D84
	v_mul_f32_e64 v47, -v133, s6                               // 000000007040: D105002F 20000D85
	v_mul_f32_e64 v48, -v134, s6                               // 000000007048: D1050030 20000D86
	v_mul_f32_e64 v49, -v135, s6                               // 000000007050: D1050031 20000D87
	v_exp_f32_e32 v46, v46                                     // 000000007058: 7E5C412E
	v_exp_f32_e32 v47, v47                                     // 00000000705C: 7E5E412F
	v_exp_f32_e32 v48, v48                                     // 000000007060: 7E604130
	v_exp_f32_e32 v49, v49                                     // 000000007064: 7E624131
	buffer_load_dwordx4 a[12:15], v39, s[12:15], 0 offen       // 000000007068: E05C1000 80830C27
	s_add_u32 s12, s78, s12                                    // 000000007070: 800C0C4E
	s_addc_u32 s13, 0, s13                                     // 000000007074: 820D0D80
	v_add_f32_e64 v46, v46, 1.0                                // 000000007078: D101002E 0001E52E
	v_add_f32_e64 v47, v47, 1.0                                // 000000007080: D101002F 0001E52F
	v_add_f32_e64 v48, v48, 1.0                                // 000000007088: D1010030 0001E530
	v_add_f32_e64 v49, v49, 1.0                                // 000000007090: D1010031 0001E531
	v_rcp_f32_e32 v46, v46                                     // 000000007098: 7E5C452E
	v_rcp_f32_e32 v47, v47                                     // 00000000709C: 7E5E452F
	v_rcp_f32_e32 v48, v48                                     // 0000000070A0: 7E604530
	v_rcp_f32_e32 v49, v49                                     // 0000000070A4: 7E624531
	v_mul_f32_e32 v132, v132, v46                              // 0000000070A8: 0B085D84
	v_mul_f32_e32 v133, v133, v47                              // 0000000070AC: 0B0A5F85
	v_mul_f32_e32 v134, v134, v48                              // 0000000070B0: 0B0C6186
	v_mul_f32_e32 v135, v135, v49                              // 0000000070B4: 0B0E6387
	v_mul_f32_e32 v132, v132, v68                              // 0000000070B8: 0B088984
	v_mul_f32_e32 v133, v133, v69                              // 0000000070BC: 0B0A8B85
	v_mul_f32_e32 v134, v134, v70                              // 0000000070C0: 0B0C8D86
	v_mul_f32_e32 v135, v135, v71                              // 0000000070C4: 0B0E8F87
	s_waitcnt vmcnt(12)                                        // 0000000070C8: BF8C0F7C
	buffer_load_dwordx4 a[16:19], v36, s[12:15], 0 offen       // 0000000070CC: E05C1000 80831024
	v_mul_f32_e64 v46, -v136, s6                               // 0000000070D4: D105002E 20000D88
	v_mul_f32_e64 v47, -v137, s6                               // 0000000070DC: D105002F 20000D89
	v_mul_f32_e64 v48, -v138, s6                               // 0000000070E4: D1050030 20000D8A
	v_mul_f32_e64 v49, -v139, s6                               // 0000000070EC: D1050031 20000D8B
	v_exp_f32_e32 v46, v46                                     // 0000000070F4: 7E5C412E
	v_exp_f32_e32 v47, v47                                     // 0000000070F8: 7E5E412F
	v_exp_f32_e32 v48, v48                                     // 0000000070FC: 7E604130
	v_exp_f32_e32 v49, v49                                     // 000000007100: 7E624131
	buffer_load_dwordx4 a[20:23], v37, s[12:15], 0 offen       // 000000007104: E05C1000 80831425
	v_add_f32_e64 v46, v46, 1.0                                // 00000000710C: D101002E 0001E52E
	v_add_f32_e64 v47, v47, 1.0                                // 000000007114: D101002F 0001E52F
	v_add_f32_e64 v48, v48, 1.0                                // 00000000711C: D1010030 0001E530
	v_add_f32_e64 v49, v49, 1.0                                // 000000007124: D1010031 0001E531
	v_rcp_f32_e32 v46, v46                                     // 00000000712C: 7E5C452E
	v_rcp_f32_e32 v47, v47                                     // 000000007130: 7E5E452F
	v_rcp_f32_e32 v48, v48                                     // 000000007134: 7E604530
	v_rcp_f32_e32 v49, v49                                     // 000000007138: 7E624531
	v_mul_f32_e32 v136, v136, v46                              // 00000000713C: 0B105D88
	v_mul_f32_e32 v137, v137, v47                              // 000000007140: 0B125F89
	v_mul_f32_e32 v138, v138, v48                              // 000000007144: 0B14618A
	v_mul_f32_e32 v139, v139, v49                              // 000000007148: 0B16638B
	v_mul_f32_e32 v136, v136, v72                              // 00000000714C: 0B109188
	v_mul_f32_e32 v137, v137, v73                              // 000000007150: 0B129389
	v_mul_f32_e32 v138, v138, v74                              // 000000007154: 0B14958A
	v_mul_f32_e32 v139, v139, v75                              // 000000007158: 0B16978B
	buffer_load_dwordx4 a[24:27], v38, s[12:15], 0 offen       // 00000000715C: E05C1000 80831826
	v_mul_f32_e64 v46, -v140, s6                               // 000000007164: D105002E 20000D8C
	v_mul_f32_e64 v47, -v141, s6                               // 00000000716C: D105002F 20000D8D
	v_mul_f32_e64 v48, -v142, s6                               // 000000007174: D1050030 20000D8E
	v_mul_f32_e64 v49, -v143, s6                               // 00000000717C: D1050031 20000D8F
	v_exp_f32_e32 v46, v46                                     // 000000007184: 7E5C412E
	v_exp_f32_e32 v47, v47                                     // 000000007188: 7E5E412F
	v_exp_f32_e32 v48, v48                                     // 00000000718C: 7E604130
	v_exp_f32_e32 v49, v49                                     // 000000007190: 7E624131
	buffer_load_dwordx4 a[28:31], v39, s[12:15], 0 offen       // 000000007194: E05C1000 80831C27
	s_add_u32 s12, s78, s12                                    // 00000000719C: 800C0C4E
	s_addc_u32 s13, 0, s13                                     // 0000000071A0: 820D0D80
	v_add_f32_e64 v46, v46, 1.0                                // 0000000071A4: D101002E 0001E52E
	v_add_f32_e64 v47, v47, 1.0                                // 0000000071AC: D101002F 0001E52F
	v_add_f32_e64 v48, v48, 1.0                                // 0000000071B4: D1010030 0001E530
	v_add_f32_e64 v49, v49, 1.0                                // 0000000071BC: D1010031 0001E531
	v_rcp_f32_e32 v46, v46                                     // 0000000071C4: 7E5C452E
	v_rcp_f32_e32 v47, v47                                     // 0000000071C8: 7E5E452F
	v_rcp_f32_e32 v48, v48                                     // 0000000071CC: 7E604530
	v_rcp_f32_e32 v49, v49                                     // 0000000071D0: 7E624531
	v_mul_f32_e32 v140, v140, v46                              // 0000000071D4: 0B185D8C
	v_mul_f32_e32 v141, v141, v47                              // 0000000071D8: 0B1A5F8D
	v_mul_f32_e32 v142, v142, v48                              // 0000000071DC: 0B1C618E
	v_mul_f32_e32 v143, v143, v49                              // 0000000071E0: 0B1E638F
	v_mul_f32_e32 v140, v140, v76                              // 0000000071E4: 0B18998C
	v_mul_f32_e32 v141, v141, v77                              // 0000000071E8: 0B1A9B8D
	v_mul_f32_e32 v142, v142, v78                              // 0000000071EC: 0B1C9D8E
	v_mul_f32_e32 v143, v143, v79                              // 0000000071F0: 0B1E9F8F
	s_waitcnt vmcnt(12)                                        // 0000000071F4: BF8C0F7C
	buffer_load_dwordx4 a[32:35], v36, s[12:15], 0 offen       // 0000000071F8: E05C1000 80832024
	v_mul_f32_e64 v46, -v144, s6                               // 000000007200: D105002E 20000D90
	v_mul_f32_e64 v47, -v145, s6                               // 000000007208: D105002F 20000D91
	v_mul_f32_e64 v48, -v146, s6                               // 000000007210: D1050030 20000D92
	v_mul_f32_e64 v49, -v147, s6                               // 000000007218: D1050031 20000D93
	v_exp_f32_e32 v46, v46                                     // 000000007220: 7E5C412E
	v_exp_f32_e32 v47, v47                                     // 000000007224: 7E5E412F
	v_exp_f32_e32 v48, v48                                     // 000000007228: 7E604130
	v_exp_f32_e32 v49, v49                                     // 00000000722C: 7E624131
	buffer_load_dwordx4 a[36:39], v37, s[12:15], 0 offen       // 000000007230: E05C1000 80832425
	v_add_f32_e64 v46, v46, 1.0                                // 000000007238: D101002E 0001E52E
	v_add_f32_e64 v47, v47, 1.0                                // 000000007240: D101002F 0001E52F
	v_add_f32_e64 v48, v48, 1.0                                // 000000007248: D1010030 0001E530
	v_add_f32_e64 v49, v49, 1.0                                // 000000007250: D1010031 0001E531
	v_rcp_f32_e32 v46, v46                                     // 000000007258: 7E5C452E
	v_rcp_f32_e32 v47, v47                                     // 00000000725C: 7E5E452F
	v_rcp_f32_e32 v48, v48                                     // 000000007260: 7E604530
	v_rcp_f32_e32 v49, v49                                     // 000000007264: 7E624531
	v_mul_f32_e32 v144, v144, v46                              // 000000007268: 0B205D90
	v_mul_f32_e32 v145, v145, v47                              // 00000000726C: 0B225F91
	v_mul_f32_e32 v146, v146, v48                              // 000000007270: 0B246192
	v_mul_f32_e32 v147, v147, v49                              // 000000007274: 0B266393
	v_mul_f32_e32 v144, v144, v80                              // 000000007278: 0B20A190
	v_mul_f32_e32 v145, v145, v81                              // 00000000727C: 0B22A391
	v_mul_f32_e32 v146, v146, v82                              // 000000007280: 0B24A592
	v_mul_f32_e32 v147, v147, v83                              // 000000007284: 0B26A793
	buffer_load_dwordx4 a[40:43], v38, s[12:15], 0 offen       // 000000007288: E05C1000 80832826
	v_mul_f32_e64 v46, -v148, s6                               // 000000007290: D105002E 20000D94
	v_mul_f32_e64 v47, -v149, s6                               // 000000007298: D105002F 20000D95
	v_mul_f32_e64 v48, -v150, s6                               // 0000000072A0: D1050030 20000D96
	v_mul_f32_e64 v49, -v151, s6                               // 0000000072A8: D1050031 20000D97
	v_exp_f32_e32 v46, v46                                     // 0000000072B0: 7E5C412E
	v_exp_f32_e32 v47, v47                                     // 0000000072B4: 7E5E412F
	v_exp_f32_e32 v48, v48                                     // 0000000072B8: 7E604130
	v_exp_f32_e32 v49, v49                                     // 0000000072BC: 7E624131
	buffer_load_dwordx4 a[44:47], v39, s[12:15], 0 offen       // 0000000072C0: E05C1000 80832C27
	s_add_u32 s12, s78, s12                                    // 0000000072C8: 800C0C4E
	s_addc_u32 s13, 0, s13                                     // 0000000072CC: 820D0D80
	v_add_f32_e64 v46, v46, 1.0                                // 0000000072D0: D101002E 0001E52E
	v_add_f32_e64 v47, v47, 1.0                                // 0000000072D8: D101002F 0001E52F
	v_add_f32_e64 v48, v48, 1.0                                // 0000000072E0: D1010030 0001E530
	v_add_f32_e64 v49, v49, 1.0                                // 0000000072E8: D1010031 0001E531
	v_rcp_f32_e32 v46, v46                                     // 0000000072F0: 7E5C452E
	v_rcp_f32_e32 v47, v47                                     // 0000000072F4: 7E5E452F
	v_rcp_f32_e32 v48, v48                                     // 0000000072F8: 7E604530
	v_rcp_f32_e32 v49, v49                                     // 0000000072FC: 7E624531
	v_mul_f32_e32 v148, v148, v46                              // 000000007300: 0B285D94
	v_mul_f32_e32 v149, v149, v47                              // 000000007304: 0B2A5F95
	v_mul_f32_e32 v150, v150, v48                              // 000000007308: 0B2C6196
	v_mul_f32_e32 v151, v151, v49                              // 00000000730C: 0B2E6397
	v_mul_f32_e32 v148, v148, v84                              // 000000007310: 0B28A994
	v_mul_f32_e32 v149, v149, v85                              // 000000007314: 0B2AAB95
	v_mul_f32_e32 v150, v150, v86                              // 000000007318: 0B2CAD96
	v_mul_f32_e32 v151, v151, v87                              // 00000000731C: 0B2EAF97
	s_waitcnt vmcnt(12)                                        // 000000007320: BF8C0F7C
	buffer_load_dwordx4 a[48:51], v36, s[12:15], 0 offen       // 000000007324: E05C1000 80833024
	v_mul_f32_e64 v46, -v152, s6                               // 00000000732C: D105002E 20000D98
	v_mul_f32_e64 v47, -v153, s6                               // 000000007334: D105002F 20000D99
	v_mul_f32_e64 v48, -v154, s6                               // 00000000733C: D1050030 20000D9A
	v_mul_f32_e64 v49, -v155, s6                               // 000000007344: D1050031 20000D9B
	v_exp_f32_e32 v46, v46                                     // 00000000734C: 7E5C412E
	v_exp_f32_e32 v47, v47                                     // 000000007350: 7E5E412F
	v_exp_f32_e32 v48, v48                                     // 000000007354: 7E604130
	v_exp_f32_e32 v49, v49                                     // 000000007358: 7E624131
	buffer_load_dwordx4 a[52:55], v37, s[12:15], 0 offen       // 00000000735C: E05C1000 80833425
	v_add_f32_e64 v46, v46, 1.0                                // 000000007364: D101002E 0001E52E
	v_add_f32_e64 v47, v47, 1.0                                // 00000000736C: D101002F 0001E52F
	v_add_f32_e64 v48, v48, 1.0                                // 000000007374: D1010030 0001E530
	v_add_f32_e64 v49, v49, 1.0                                // 00000000737C: D1010031 0001E531
	v_rcp_f32_e32 v46, v46                                     // 000000007384: 7E5C452E
	v_rcp_f32_e32 v47, v47                                     // 000000007388: 7E5E452F
	v_rcp_f32_e32 v48, v48                                     // 00000000738C: 7E604530
	v_rcp_f32_e32 v49, v49                                     // 000000007390: 7E624531
	v_mul_f32_e32 v152, v152, v46                              // 000000007394: 0B305D98
	v_mul_f32_e32 v153, v153, v47                              // 000000007398: 0B325F99
	v_mul_f32_e32 v154, v154, v48                              // 00000000739C: 0B34619A
	v_mul_f32_e32 v155, v155, v49                              // 0000000073A0: 0B36639B
	v_mul_f32_e32 v152, v152, v88                              // 0000000073A4: 0B30B198
	v_mul_f32_e32 v153, v153, v89                              // 0000000073A8: 0B32B399
	v_mul_f32_e32 v154, v154, v90                              // 0000000073AC: 0B34B59A
	v_mul_f32_e32 v155, v155, v91                              // 0000000073B0: 0B36B79B
	buffer_load_dwordx4 a[56:59], v38, s[12:15], 0 offen       // 0000000073B4: E05C1000 80833826
	v_mul_f32_e64 v46, -v156, s6                               // 0000000073BC: D105002E 20000D9C
	v_mul_f32_e64 v47, -v157, s6                               // 0000000073C4: D105002F 20000D9D
	v_mul_f32_e64 v48, -v158, s6                               // 0000000073CC: D1050030 20000D9E
	v_mul_f32_e64 v49, -v159, s6                               // 0000000073D4: D1050031 20000D9F
	v_exp_f32_e32 v46, v46                                     // 0000000073DC: 7E5C412E
	v_exp_f32_e32 v47, v47                                     // 0000000073E0: 7E5E412F
	v_exp_f32_e32 v48, v48                                     // 0000000073E4: 7E604130
	v_exp_f32_e32 v49, v49                                     // 0000000073E8: 7E624131
	buffer_load_dwordx4 a[60:63], v39, s[12:15], 0 offen       // 0000000073EC: E05C1000 80833C27
	v_add_f32_e64 v46, v46, 1.0                                // 0000000073F4: D101002E 0001E52E
	v_add_f32_e64 v47, v47, 1.0                                // 0000000073FC: D101002F 0001E52F
	v_add_f32_e64 v48, v48, 1.0                                // 000000007404: D1010030 0001E530
	v_add_f32_e64 v49, v49, 1.0                                // 00000000740C: D1010031 0001E531
	v_rcp_f32_e32 v46, v46                                     // 000000007414: 7E5C452E
	v_rcp_f32_e32 v47, v47                                     // 000000007418: 7E5E452F
	v_rcp_f32_e32 v48, v48                                     // 00000000741C: 7E604530
	v_rcp_f32_e32 v49, v49                                     // 000000007420: 7E624531
	v_mul_f32_e32 v156, v156, v46                              // 000000007424: 0B385D9C
	v_mul_f32_e32 v157, v157, v47                              // 000000007428: 0B3A5F9D
	v_mul_f32_e32 v158, v158, v48                              // 00000000742C: 0B3C619E
	v_mul_f32_e32 v159, v159, v49                              // 000000007430: 0B3E639F
	v_mul_f32_e32 v156, v156, v92                              // 000000007434: 0B38B99C
	v_mul_f32_e32 v157, v157, v93                              // 000000007438: 0B3ABB9D
	v_mul_f32_e32 v158, v158, v94                              // 00000000743C: 0B3CBD9E
	v_mul_f32_e32 v159, v159, v95                              // 000000007440: 0B3EBF9F
	v_mul_f32_dpp v128, v16, v128 row_newbcast:0 row_mask:0xf bank_mask:0xf// 000000007444: 0B0100FA FF015010
	v_mul_f32_dpp v129, v16, v129 row_newbcast:1 row_mask:0xf bank_mask:0xf// 00000000744C: 0B0302FA FF015110
	v_mul_f32_dpp v130, v16, v130 row_newbcast:2 row_mask:0xf bank_mask:0xf// 000000007454: 0B0504FA FF015210
	v_mul_f32_dpp v131, v16, v131 row_newbcast:3 row_mask:0xf bank_mask:0xf// 00000000745C: 0B0706FA FF015310
	v_mul_f32_dpp v132, v16, v132 row_newbcast:0 row_mask:0xf bank_mask:0xf// 000000007464: 0B0908FA FF015010
	v_mul_f32_dpp v133, v16, v133 row_newbcast:1 row_mask:0xf bank_mask:0xf// 00000000746C: 0B0B0AFA FF015110
	v_mul_f32_dpp v134, v16, v134 row_newbcast:2 row_mask:0xf bank_mask:0xf// 000000007474: 0B0D0CFA FF015210
	v_mul_f32_dpp v135, v16, v135 row_newbcast:3 row_mask:0xf bank_mask:0xf// 00000000747C: 0B0F0EFA FF015310
	v_mul_f32_dpp v136, v16, v136 row_newbcast:4 row_mask:0xf bank_mask:0xf// 000000007484: 0B1110FA FF015410
	v_mul_f32_dpp v137, v16, v137 row_newbcast:5 row_mask:0xf bank_mask:0xf// 00000000748C: 0B1312FA FF015510
	v_mul_f32_dpp v138, v16, v138 row_newbcast:6 row_mask:0xf bank_mask:0xf// 000000007494: 0B1514FA FF015610
	v_mul_f32_dpp v139, v16, v139 row_newbcast:7 row_mask:0xf bank_mask:0xf// 00000000749C: 0B1716FA FF015710
	v_mul_f32_dpp v140, v16, v140 row_newbcast:4 row_mask:0xf bank_mask:0xf// 0000000074A4: 0B1918FA FF015410
	v_mul_f32_dpp v141, v16, v141 row_newbcast:5 row_mask:0xf bank_mask:0xf// 0000000074AC: 0B1B1AFA FF015510
	v_mul_f32_dpp v142, v16, v142 row_newbcast:6 row_mask:0xf bank_mask:0xf// 0000000074B4: 0B1D1CFA FF015610
	v_mul_f32_dpp v143, v16, v143 row_newbcast:7 row_mask:0xf bank_mask:0xf// 0000000074BC: 0B1F1EFA FF015710
	v_mul_f32_dpp v144, v16, v144 row_newbcast:8 row_mask:0xf bank_mask:0xf// 0000000074C4: 0B2120FA FF015810
	v_mul_f32_dpp v145, v16, v145 row_newbcast:9 row_mask:0xf bank_mask:0xf// 0000000074CC: 0B2322FA FF015910
	v_mul_f32_dpp v146, v16, v146 row_newbcast:10 row_mask:0xf bank_mask:0xf// 0000000074D4: 0B2524FA FF015A10
	v_mul_f32_dpp v147, v16, v147 row_newbcast:11 row_mask:0xf bank_mask:0xf// 0000000074DC: 0B2726FA FF015B10
	v_mul_f32_dpp v148, v16, v148 row_newbcast:8 row_mask:0xf bank_mask:0xf// 0000000074E4: 0B2928FA FF015810
	v_mul_f32_dpp v149, v16, v149 row_newbcast:9 row_mask:0xf bank_mask:0xf// 0000000074EC: 0B2B2AFA FF015910
	v_mul_f32_dpp v150, v16, v150 row_newbcast:10 row_mask:0xf bank_mask:0xf// 0000000074F4: 0B2D2CFA FF015A10
	v_mul_f32_dpp v151, v16, v151 row_newbcast:11 row_mask:0xf bank_mask:0xf// 0000000074FC: 0B2F2EFA FF015B10
	v_mul_f32_dpp v152, v16, v152 row_newbcast:12 row_mask:0xf bank_mask:0xf// 000000007504: 0B3130FA FF015C10
	v_mul_f32_dpp v153, v16, v153 row_newbcast:13 row_mask:0xf bank_mask:0xf// 00000000750C: 0B3332FA FF015D10
	v_mul_f32_dpp v154, v16, v154 row_newbcast:14 row_mask:0xf bank_mask:0xf// 000000007514: 0B3534FA FF015E10
	v_mul_f32_dpp v155, v16, v155 row_newbcast:15 row_mask:0xf bank_mask:0xf// 00000000751C: 0B3736FA FF015F10
	v_mul_f32_dpp v156, v16, v156 row_newbcast:12 row_mask:0xf bank_mask:0xf// 000000007524: 0B3938FA FF015C10
	v_mul_f32_dpp v157, v16, v157 row_newbcast:13 row_mask:0xf bank_mask:0xf// 00000000752C: 0B3B3AFA FF015D10
	v_mul_f32_dpp v158, v16, v158 row_newbcast:14 row_mask:0xf bank_mask:0xf// 000000007534: 0B3D3CFA FF015E10
	v_mul_f32_dpp v159, v16, v159 row_newbcast:15 row_mask:0xf bank_mask:0xf// 00000000753C: 0B3F3EFA FF015F10
	v_lshlrev_b32_e32 v46, 2, v0                               // 000000007544: 245C0082
	s_mul_i32 s60, s82, s71                                    // 000000007548: 923C4752
	v_add_u32_e64 v80, v46, s60                                // 00000000754C: D1340050 0000792E
	v_mov_b32_e32 v81, 0                                       // 000000007554: 7EA20280
	s_mul_i32 s60, s83, s71                                    // 000000007558: 923C4753
	v_add_u32_e64 v82, v46, s60                                // 00000000755C: D1340052 0000792E
	v_mov_b32_e32 v83, 0                                       // 000000007564: 7EA60280
	s_mul_i32 s60, s84, s71                                    // 000000007568: 923C4754
	v_add_u32_e64 v84, v46, s60                                // 00000000756C: D1340054 0000792E
	v_mov_b32_e32 v85, 0                                       // 000000007574: 7EAA0280
	s_mul_i32 s60, s85, s71                                    // 000000007578: 923C4755
	v_add_u32_e64 v86, v46, s60                                // 00000000757C: D1340056 0000792E
	v_mov_b32_e32 v87, 0                                       // 000000007584: 7EAE0280
	s_mul_i32 s60, s86, s71                                    // 000000007588: 923C4756
	v_add_u32_e64 v88, v46, s60                                // 00000000758C: D1340058 0000792E
	v_mov_b32_e32 v89, 0                                       // 000000007594: 7EB20280
	s_mul_i32 s60, s87, s71                                    // 000000007598: 923C4757
	v_add_u32_e64 v90, v46, s60                                // 00000000759C: D134005A 0000792E
	v_mov_b32_e32 v91, 0                                       // 0000000075A4: 7EB60280
	s_mul_i32 s60, s88, s71                                    // 0000000075A8: 923C4758
	v_add_u32_e64 v92, v46, s60                                // 0000000075AC: D134005C 0000792E
	v_mov_b32_e32 v93, 0                                       // 0000000075B4: 7EBA0280
	s_mul_i32 s60, s89, s71                                    // 0000000075B8: 923C4759
	v_add_u32_e64 v94, v46, s60                                // 0000000075BC: D134005E 0000792E
	v_mov_b32_e32 v95, 0                                       // 0000000075C4: 7EBE0280
	buffer_load_dword v11, v5, s[16:19], 0 offen               // 0000000075C8: E0501000 80040B05
	v_mov_b32_e32 v20, 0x358637bd                              // 0000000075D0: 7E2802FF 358637BD
	v_mov_b32_e32 v21, 0x358637bd                              // 0000000075D8: 7E2A02FF 358637BD
	v_max3_f32 v20, |v128|, |v129|, v20                        // 0000000075E0: D1D30314 04530380
	v_max3_f32 v20, |v130|, |v131|, v20                        // 0000000075E8: D1D30314 04530782
	v_max3_f32 v21, |v132|, |v133|, v21                        // 0000000075F0: D1D30315 04570B84
	v_max3_f32 v21, |v134|, |v135|, v21                        // 0000000075F8: D1D30315 04570F86
	v_max3_f32 v20, |v136|, |v137|, v20                        // 000000007600: D1D30314 04531388
	v_max3_f32 v20, |v138|, |v139|, v20                        // 000000007608: D1D30314 0453178A
	v_max3_f32 v21, |v140|, |v141|, v21                        // 000000007610: D1D30315 04571B8C
	v_max3_f32 v21, |v142|, |v143|, v21                        // 000000007618: D1D30315 04571F8E
	v_max3_f32 v20, |v144|, |v145|, v20                        // 000000007620: D1D30314 04532390
	v_max3_f32 v20, |v146|, |v147|, v20                        // 000000007628: D1D30314 04532792
	v_max3_f32 v21, |v148|, |v149|, v21                        // 000000007630: D1D30315 04572B94
	v_max3_f32 v21, |v150|, |v151|, v21                        // 000000007638: D1D30315 04572F96
	v_max3_f32 v20, |v152|, |v153|, v20                        // 000000007640: D1D30314 04533398
	v_max3_f32 v20, |v154|, |v155|, v20                        // 000000007648: D1D30314 0453379A
	v_max3_f32 v21, |v156|, |v157|, v21                        // 000000007650: D1D30315 04573B9C
	v_max3_f32 v21, |v158|, |v159|, v21                        // 000000007658: D1D30315 04573F9E
	v_lshlrev_b32_e32 v46, 3, v0                               // 000000007660: 245C0083
	s_mul_i32 s60, 0x200, s7                                   // 000000007664: 923C07FF 00000200
	v_add_u32_e32 v46, s60, v46                                // 00000000766C: 685C5C3C
	ds_write_b64 v46, v[20:21] offset:16640                    // 000000007670: D89A4100 0000142E
	s_waitcnt lgkmcnt(0)                                       // 000000007678: BF8CC07F
	s_barrier                                                  // 00000000767C: BF8A0000
	v_and_b32_e32 v46, 15, v0                                  // 000000007680: 265C008F
	v_lshlrev_b32_e32 v46, 3, v46                              // 000000007684: 245C5C83
	ds_read_b64 v[96:97], v46 offset:16640                     // 000000007688: D8EC4100 6000002E
	ds_read_b64 v[98:99], v46 offset:16768                     // 000000007690: D8EC4180 6200002E
	ds_read_b64 v[100:101], v46 offset:16896                   // 000000007698: D8EC4200 6400002E
	ds_read_b64 v[102:103], v46 offset:17024                   // 0000000076A0: D8EC4280 6600002E
	ds_read_b64 v[104:105], v46 offset:17152                   // 0000000076A8: D8EC4300 6800002E
	ds_read_b64 v[106:107], v46 offset:17280                   // 0000000076B0: D8EC4380 6A00002E
	ds_read_b64 v[108:109], v46 offset:17408                   // 0000000076B8: D8EC4400 6C00002E
	ds_read_b64 v[110:111], v46 offset:17536                   // 0000000076C0: D8EC4480 6E00002E
	ds_read_b64 v[112:113], v46 offset:17664                   // 0000000076C8: D8EC4500 7000002E
	ds_read_b64 v[114:115], v46 offset:17792                   // 0000000076D0: D8EC4580 7200002E
	ds_read_b64 v[116:117], v46 offset:17920                   // 0000000076D8: D8EC4600 7400002E
	ds_read_b64 v[118:119], v46 offset:18048                   // 0000000076E0: D8EC4680 7600002E
	ds_read_b64 v[120:121], v46 offset:18176                   // 0000000076E8: D8EC4700 7800002E
	ds_read_b64 v[122:123], v46 offset:18304                   // 0000000076F0: D8EC4780 7A00002E
	ds_read_b64 v[124:125], v46 offset:18432                   // 0000000076F8: D8EC4800 7C00002E
	ds_read_b64 v[126:127], v46 offset:18560                   // 000000007700: D8EC4880 7E00002E
	s_waitcnt lgkmcnt(0)                                       // 000000007708: BF8CC07F
	v_max3_f32 v20, |v96|, |v98|, v20                          // 00000000770C: D1D30314 0452C560
	v_max3_f32 v21, |v97|, |v99|, v21                          // 000000007714: D1D30315 0456C761
	v_max3_f32 v20, |v100|, |v102|, v20                        // 00000000771C: D1D30314 0452CD64
	v_max3_f32 v21, |v101|, |v103|, v21                        // 000000007724: D1D30315 0456CF65
	v_max3_f32 v20, |v104|, |v106|, v20                        // 00000000772C: D1D30314 0452D568
	v_max3_f32 v21, |v105|, |v107|, v21                        // 000000007734: D1D30315 0456D769
	v_max3_f32 v20, |v108|, |v110|, v20                        // 00000000773C: D1D30314 0452DD6C
	v_max3_f32 v21, |v109|, |v111|, v21                        // 000000007744: D1D30315 0456DF6D
	v_max3_f32 v20, |v112|, |v114|, v20                        // 00000000774C: D1D30314 0452E570
	v_max3_f32 v21, |v113|, |v115|, v21                        // 000000007754: D1D30315 0456E771
	v_max3_f32 v20, |v116|, |v118|, v20                        // 00000000775C: D1D30314 0452ED74
	v_max3_f32 v21, |v117|, |v119|, v21                        // 000000007764: D1D30315 0456EF75
	v_max3_f32 v20, |v120|, |v122|, v20                        // 00000000776C: D1D30314 0452F578
	v_max3_f32 v21, |v121|, |v123|, v21                        // 000000007774: D1D30315 0456F779
	v_max3_f32 v20, |v124|, |v126|, v20                        // 00000000777C: D1D30314 0452FD7C
	v_max3_f32 v21, |v125|, |v127|, v21                        // 000000007784: D1D30315 0456FF7D
	v_rcp_f32_e32 v20, v20                                     // 00000000778C: 7E284514
	v_rcp_f32_e32 v21, v21                                     // 000000007790: 7E2A4515
	v_mov_b32_e32 v46, 0x43e00000                              // 000000007794: 7E5C02FF 43E00000
	v_mul_f32_e32 v20, v46, v20                                // 00000000779C: 0A28292E
	v_mul_f32_e32 v21, v46, v21                                // 0000000077A0: 0A2A2B2E
	v_mul_f32_e32 v128, v20, v128                              // 0000000077A4: 0B010114
	v_mul_f32_e32 v129, v20, v129                              // 0000000077A8: 0B030314
	v_mul_f32_e32 v130, v20, v130                              // 0000000077AC: 0B050514
	v_mul_f32_e32 v131, v20, v131                              // 0000000077B0: 0B070714
	v_cvt_pk_fp8_f32 v128, v128, v129                          // 0000000077B4: D2A20080 00030380
	v_cvt_pk_fp8_f32 v128, v130, v131 op_sel:[0,0,1]           // 0000000077BC: D2A24080 00030782
	v_mul_f32_e32 v132, v21, v132                              // 0000000077C4: 0B090915
	v_mul_f32_e32 v133, v21, v133                              // 0000000077C8: 0B0B0B15
	v_mul_f32_e32 v134, v21, v134                              // 0000000077CC: 0B0D0D15
	v_mul_f32_e32 v135, v21, v135                              // 0000000077D0: 0B0F0F15
	v_cvt_pk_fp8_f32 v129, v132, v133                          // 0000000077D4: D2A20081 00030B84
	v_cvt_pk_fp8_f32 v129, v134, v135 op_sel:[0,0,1]           // 0000000077DC: D2A24081 00030F86
	v_mul_f32_e32 v136, v20, v136                              // 0000000077E4: 0B111114
	v_mul_f32_e32 v137, v20, v137                              // 0000000077E8: 0B131314
	v_mul_f32_e32 v138, v20, v138                              // 0000000077EC: 0B151514
	v_mul_f32_e32 v139, v20, v139                              // 0000000077F0: 0B171714
	v_cvt_pk_fp8_f32 v130, v136, v137                          // 0000000077F4: D2A20082 00031388
	v_cvt_pk_fp8_f32 v130, v138, v139 op_sel:[0,0,1]           // 0000000077FC: D2A24082 0003178A
	v_mul_f32_e32 v140, v21, v140                              // 000000007804: 0B191915
	v_mul_f32_e32 v141, v21, v141                              // 000000007808: 0B1B1B15
	v_mul_f32_e32 v142, v21, v142                              // 00000000780C: 0B1D1D15
	v_mul_f32_e32 v143, v21, v143                              // 000000007810: 0B1F1F15
	v_cvt_pk_fp8_f32 v131, v140, v141                          // 000000007814: D2A20083 00031B8C
	v_cvt_pk_fp8_f32 v131, v142, v143 op_sel:[0,0,1]           // 00000000781C: D2A24083 00031F8E
	v_mul_f32_e32 v144, v20, v144                              // 000000007824: 0B212114
	v_mul_f32_e32 v145, v20, v145                              // 000000007828: 0B232314
	v_mul_f32_e32 v146, v20, v146                              // 00000000782C: 0B252514
	v_mul_f32_e32 v147, v20, v147                              // 000000007830: 0B272714
	v_cvt_pk_fp8_f32 v132, v144, v145                          // 000000007834: D2A20084 00032390
	v_cvt_pk_fp8_f32 v132, v146, v147 op_sel:[0,0,1]           // 00000000783C: D2A24084 00032792
	v_mul_f32_e32 v148, v21, v148                              // 000000007844: 0B292915
	v_mul_f32_e32 v149, v21, v149                              // 000000007848: 0B2B2B15
	v_mul_f32_e32 v150, v21, v150                              // 00000000784C: 0B2D2D15
	v_mul_f32_e32 v151, v21, v151                              // 000000007850: 0B2F2F15
	v_cvt_pk_fp8_f32 v133, v148, v149                          // 000000007854: D2A20085 00032B94
	v_cvt_pk_fp8_f32 v133, v150, v151 op_sel:[0,0,1]           // 00000000785C: D2A24085 00032F96
	v_mul_f32_e32 v152, v20, v152                              // 000000007864: 0B313114
	v_mul_f32_e32 v153, v20, v153                              // 000000007868: 0B333314
	v_mul_f32_e32 v154, v20, v154                              // 00000000786C: 0B353514
	v_mul_f32_e32 v155, v20, v155                              // 000000007870: 0B373714
	v_cvt_pk_fp8_f32 v134, v152, v153                          // 000000007874: D2A20086 00033398
	v_cvt_pk_fp8_f32 v134, v154, v155 op_sel:[0,0,1]           // 00000000787C: D2A24086 0003379A
	v_mul_f32_e32 v156, v21, v156                              // 000000007884: 0B393915
	v_mul_f32_e32 v157, v21, v157                              // 000000007888: 0B3B3B15
	v_mul_f32_e32 v158, v21, v158                              // 00000000788C: 0B3D3D15
	v_mul_f32_e32 v159, v21, v159                              // 000000007890: 0B3F3F15
	v_cvt_pk_fp8_f32 v135, v156, v157                          // 000000007894: D2A20087 00033B9C
	v_cvt_pk_fp8_f32 v135, v158, v159 op_sel:[0,0,1]           // 00000000789C: D2A24087 00033F9E
	v_rcp_f32_e32 v22, v20                                     // 0000000078A4: 7E2C4514
	v_rcp_f32_e32 v23, v21                                     // 0000000078A8: 7E2E4515
	v_lshrrev_b32_e32 v46, 5, v0                               // 0000000078AC: 205C0085
	v_lshlrev_b32_e32 v47, 5, v46                              // 0000000078B0: 245E5C85
	v_and_b32_e32 v46, 31, v0                                  // 0000000078B4: 265C009F
	v_lshrrev_b32_e32 v48, 4, v46                              // 0000000078B8: 20605C84
	v_add_u32_e32 v47, v48, v47                                // 0000000078BC: 685E5F30
	v_and_b32_e32 v46, 15, v0                                  // 0000000078C0: 265C008F
	v_lshlrev_b32_e32 v46, 1, v46                              // 0000000078C4: 245C5C81
	v_add_u32_e32 v47, v46, v47                                // 0000000078C8: 685E5F2E
	v_lshlrev_b32_e32 v46, 2, v47                              // 0000000078CC: 245C5E82
	s_mul_i32 s60, 0x100, s7                                   // 0000000078D0: 923C07FF 00000100
	v_add_u32_e64 v46, v46, s60                                // 0000000078D8: D134002E 0000792E
	ds_write_b32 v46, v128 offset:18688                        // 0000000078E0: D81A4900 0000802E
	ds_write_b32 v46, v129 offset:22784                        // 0000000078E8: D81A5900 0000812E
	ds_write_b32 v46, v130 offset:19712                        // 0000000078F0: D81A4D00 0000822E
	ds_write_b32 v46, v131 offset:23808                        // 0000000078F8: D81A5D00 0000832E
	ds_write_b32 v46, v132 offset:20736                        // 000000007900: D81A5100 0000842E
	ds_write_b32 v46, v133 offset:24832                        // 000000007908: D81A6100 0000852E
	ds_write_b32 v46, v134 offset:21760                        // 000000007910: D81A5500 0000862E
	ds_write_b32 v46, v135 offset:25856                        // 000000007918: D81A6500 0000872E
	s_waitcnt lgkmcnt(0)                                       // 000000007920: BF8CC07F
	s_barrier                                                  // 000000007924: BF8A0000
	v_lshrrev_b32_e32 v46, 4, v0                               // 000000007928: 205C0084
	v_lshlrev_b32_e32 v47, 6, v46                              // 00000000792C: 245E5C86
	v_and_b32_e32 v46, 15, v0                                  // 000000007930: 265C008F
	v_lshlrev_b32_e32 v46, 1, v46                              // 000000007934: 245C5C81
	v_add_u32_e32 v47, v46, v47                                // 000000007938: 685E5F2E
	v_lshlrev_b32_e32 v46, 2, v47                              // 00000000793C: 245C5E82
	ds_read_b64 v[128:129], v46 offset:18688                   // 000000007940: D8EC4900 8000002E
	ds_read_b64 v[130:131], v46 offset:18816                   // 000000007948: D8EC4980 8200002E
	ds_read_b64 v[132:133], v46 offset:19712                   // 000000007950: D8EC4D00 8400002E
	ds_read_b64 v[134:135], v46 offset:19840                   // 000000007958: D8EC4D80 8600002E
	ds_read_b64 v[136:137], v46 offset:20736                   // 000000007960: D8EC5100 8800002E
	ds_read_b64 v[138:139], v46 offset:20864                   // 000000007968: D8EC5180 8A00002E
	ds_read_b64 v[140:141], v46 offset:21760                   // 000000007970: D8EC5500 8C00002E
	ds_read_b64 v[142:143], v46 offset:21888                   // 000000007978: D8EC5580 8E00002E
	ds_read_b64 v[144:145], v46 offset:22784                   // 000000007980: D8EC5900 9000002E
	ds_read_b64 v[146:147], v46 offset:22912                   // 000000007988: D8EC5980 9200002E
	ds_read_b64 v[148:149], v46 offset:23808                   // 000000007990: D8EC5D00 9400002E
	ds_read_b64 v[150:151], v46 offset:23936                   // 000000007998: D8EC5D80 9600002E
	ds_read_b64 v[152:153], v46 offset:24832                   // 0000000079A0: D8EC6100 9800002E
	ds_read_b64 v[154:155], v46 offset:24960                   // 0000000079A8: D8EC6180 9A00002E
	ds_read_b64 v[156:157], v46 offset:25856                   // 0000000079B0: D8EC6500 9C00002E
	ds_read_b64 v[158:159], v46 offset:25984                   // 0000000079B8: D8EC6580 9E00002E
	s_add_u32 s12, s56, s12                                    // 0000000079C0: 800C0C38
	s_addc_u32 s13, 0, s13                                     // 0000000079C4: 820D0D80
	s_add_u32 s16, s79, s16                                    // 0000000079C8: 8010104F
	s_addc_u32 s17, 0, s17                                     // 0000000079CC: 82111180
	s_mov_b32 s80, 0                                           // 0000000079D0: BED00080
	s_waitcnt vmcnt(0) expcnt(0) lgkmcnt(0)                    // 0000000079D4: BF8C0000

00000000000079d8 <label_12F6>:
	s_waitcnt vmcnt(29)                                        // 0000000079D8: BF8C4F7D
	s_barrier                                                  // 0000000079DC: BF8A0000
	v_mfma_f32_16x16x32_fp8_fp8 v[160:163], a[0:1], v[128:129], 0// 0000000079E0: D3F300A0 0A030100
	buffer_load_dwordx4 a[64:67], v36, s[12:15], 0 offen       // 0000000079E8: E05C1000 80834024
	v_mfma_f32_16x16x32_fp8_fp8 v[160:163], a[2:3], v[130:131], v[160:163]// 0000000079F0: D3F300A0 0E830502
	v_mfma_f32_16x16x32_fp8_fp8 v[164:167], a[0:1], v[144:145], 0// 0000000079F8: D3F300A4 0A032100
	v_mfma_f32_16x16x32_fp8_fp8 v[164:167], a[2:3], v[146:147], v[164:167]// 000000007A00: D3F300A4 0E932502
	v_mfma_f32_16x16x32_fp8_fp8 v[168:171], a[4:5], v[128:129], 0// 000000007A08: D3F300A8 0A030104
	buffer_load_dwordx4 a[68:71], v37, s[12:15], 0 offen       // 000000007A10: E05C1000 80834425
	v_mfma_f32_16x16x32_fp8_fp8 v[168:171], a[6:7], v[130:131], v[168:171]// 000000007A18: D3F300A8 0EA30506
	v_mfma_f32_16x16x32_fp8_fp8 v[172:175], a[4:5], v[144:145], 0// 000000007A20: D3F300AC 0A032104
	v_mfma_f32_16x16x32_fp8_fp8 v[172:175], a[6:7], v[146:147], v[172:175]// 000000007A28: D3F300AC 0EB32506
	v_mfma_f32_16x16x32_fp8_fp8 v[176:179], a[8:9], v[128:129], 0// 000000007A30: D3F300B0 0A030108
	buffer_load_dwordx4 a[72:75], v38, s[12:15], 0 offen       // 000000007A38: E05C1000 80834826
	v_mfma_f32_16x16x32_fp8_fp8 v[176:179], a[10:11], v[130:131], v[176:179]// 000000007A40: D3F300B0 0EC3050A
	v_mfma_f32_16x16x32_fp8_fp8 v[180:183], a[8:9], v[144:145], 0// 000000007A48: D3F300B4 0A032108
	v_mfma_f32_16x16x32_fp8_fp8 v[180:183], a[10:11], v[146:147], v[180:183]// 000000007A50: D3F300B4 0ED3250A
	v_mfma_f32_16x16x32_fp8_fp8 v[184:187], a[12:13], v[128:129], 0// 000000007A58: D3F300B8 0A03010C
	buffer_load_dwordx4 a[76:79], v39, s[12:15], 0 offen       // 000000007A60: E05C1000 80834C27
	s_add_u32 s12, s78, s12                                    // 000000007A68: 800C0C4E
	s_addc_u32 s13, 0, s13                                     // 000000007A6C: 820D0D80
	v_mfma_f32_16x16x32_fp8_fp8 v[184:187], a[14:15], v[130:131], v[184:187]// 000000007A70: D3F300B8 0EE3050E
	v_mfma_f32_16x16x32_fp8_fp8 v[188:191], a[12:13], v[144:145], 0// 000000007A78: D3F300BC 0A03210C
	v_mfma_f32_16x16x32_fp8_fp8 v[188:191], a[14:15], v[146:147], v[188:191]// 000000007A80: D3F300BC 0EF3250E
	s_waitcnt vmcnt(29)                                        // 000000007A88: BF8C4F7D
	v_mfma_f32_16x16x32_fp8_fp8 v[160:163], a[16:17], v[132:133], v[160:163]// 000000007A8C: D3F300A0 0E830910
	buffer_load_dwordx4 a[80:83], v36, s[12:15], 0 offen       // 000000007A94: E05C1000 80835024
	v_mfma_f32_16x16x32_fp8_fp8 v[160:163], a[18:19], v[134:135], v[160:163]// 000000007A9C: D3F300A0 0E830D12
	v_mfma_f32_16x16x32_fp8_fp8 v[164:167], a[16:17], v[148:149], v[164:167]// 000000007AA4: D3F300A4 0E932910
	v_mfma_f32_16x16x32_fp8_fp8 v[164:167], a[18:19], v[150:151], v[164:167]// 000000007AAC: D3F300A4 0E932D12
	v_mfma_f32_16x16x32_fp8_fp8 v[168:171], a[20:21], v[132:133], v[168:171]// 000000007AB4: D3F300A8 0EA30914
	buffer_load_dwordx4 a[84:87], v37, s[12:15], 0 offen       // 000000007ABC: E05C1000 80835425
	v_mfma_f32_16x16x32_fp8_fp8 v[168:171], a[22:23], v[134:135], v[168:171]// 000000007AC4: D3F300A8 0EA30D16
	v_mfma_f32_16x16x32_fp8_fp8 v[172:175], a[20:21], v[148:149], v[172:175]// 000000007ACC: D3F300AC 0EB32914
	v_mfma_f32_16x16x32_fp8_fp8 v[172:175], a[22:23], v[150:151], v[172:175]// 000000007AD4: D3F300AC 0EB32D16
	v_mfma_f32_16x16x32_fp8_fp8 v[176:179], a[24:25], v[132:133], v[176:179]// 000000007ADC: D3F300B0 0EC30918
	buffer_load_dwordx4 a[88:91], v38, s[12:15], 0 offen       // 000000007AE4: E05C1000 80835826
	v_mfma_f32_16x16x32_fp8_fp8 v[176:179], a[26:27], v[134:135], v[176:179]// 000000007AEC: D3F300B0 0EC30D1A
	v_mfma_f32_16x16x32_fp8_fp8 v[180:183], a[24:25], v[148:149], v[180:183]// 000000007AF4: D3F300B4 0ED32918
	v_mfma_f32_16x16x32_fp8_fp8 v[180:183], a[26:27], v[150:151], v[180:183]// 000000007AFC: D3F300B4 0ED32D1A
	v_mfma_f32_16x16x32_fp8_fp8 v[184:187], a[28:29], v[132:133], v[184:187]// 000000007B04: D3F300B8 0EE3091C
	buffer_load_dwordx4 a[92:95], v39, s[12:15], 0 offen       // 000000007B0C: E05C1000 80835C27
	s_add_u32 s12, s78, s12                                    // 000000007B14: 800C0C4E
	s_addc_u32 s13, 0, s13                                     // 000000007B18: 820D0D80
	v_mfma_f32_16x16x32_fp8_fp8 v[184:187], a[30:31], v[134:135], v[184:187]// 000000007B1C: D3F300B8 0EE30D1E
	v_mfma_f32_16x16x32_fp8_fp8 v[188:191], a[28:29], v[148:149], v[188:191]// 000000007B24: D3F300BC 0EF3291C
	v_mfma_f32_16x16x32_fp8_fp8 v[188:191], a[30:31], v[150:151], v[188:191]// 000000007B2C: D3F300BC 0EF32D1E
	s_waitcnt vmcnt(29)                                        // 000000007B34: BF8C4F7D
	v_mfma_f32_16x16x32_fp8_fp8 v[160:163], a[32:33], v[136:137], v[160:163]// 000000007B38: D3F300A0 0E831120
	buffer_load_dwordx4 a[96:99], v36, s[12:15], 0 offen       // 000000007B40: E05C1000 80836024
	v_mfma_f32_16x16x32_fp8_fp8 v[160:163], a[34:35], v[138:139], v[160:163]// 000000007B48: D3F300A0 0E831522
	v_mfma_f32_16x16x32_fp8_fp8 v[164:167], a[32:33], v[152:153], v[164:167]// 000000007B50: D3F300A4 0E933120
	v_mfma_f32_16x16x32_fp8_fp8 v[164:167], a[34:35], v[154:155], v[164:167]// 000000007B58: D3F300A4 0E933522
	v_mfma_f32_16x16x32_fp8_fp8 v[168:171], a[36:37], v[136:137], v[168:171]// 000000007B60: D3F300A8 0EA31124
	buffer_load_dwordx4 a[100:103], v37, s[12:15], 0 offen     // 000000007B68: E05C1000 80836425
	v_mfma_f32_16x16x32_fp8_fp8 v[168:171], a[38:39], v[138:139], v[168:171]// 000000007B70: D3F300A8 0EA31526
	v_mfma_f32_16x16x32_fp8_fp8 v[172:175], a[36:37], v[152:153], v[172:175]// 000000007B78: D3F300AC 0EB33124
	v_mfma_f32_16x16x32_fp8_fp8 v[172:175], a[38:39], v[154:155], v[172:175]// 000000007B80: D3F300AC 0EB33526
	v_mfma_f32_16x16x32_fp8_fp8 v[176:179], a[40:41], v[136:137], v[176:179]// 000000007B88: D3F300B0 0EC31128
	buffer_load_dwordx4 a[104:107], v38, s[12:15], 0 offen     // 000000007B90: E05C1000 80836826
	v_mfma_f32_16x16x32_fp8_fp8 v[176:179], a[42:43], v[138:139], v[176:179]// 000000007B98: D3F300B0 0EC3152A
	v_mfma_f32_16x16x32_fp8_fp8 v[180:183], a[40:41], v[152:153], v[180:183]// 000000007BA0: D3F300B4 0ED33128
	v_mfma_f32_16x16x32_fp8_fp8 v[180:183], a[42:43], v[154:155], v[180:183]// 000000007BA8: D3F300B4 0ED3352A
	v_mfma_f32_16x16x32_fp8_fp8 v[184:187], a[44:45], v[136:137], v[184:187]// 000000007BB0: D3F300B8 0EE3112C
	buffer_load_dwordx4 a[108:111], v39, s[12:15], 0 offen     // 000000007BB8: E05C1000 80836C27
	s_add_u32 s12, s78, s12                                    // 000000007BC0: 800C0C4E
	s_addc_u32 s13, 0, s13                                     // 000000007BC4: 820D0D80
	v_mfma_f32_16x16x32_fp8_fp8 v[184:187], a[46:47], v[138:139], v[184:187]// 000000007BC8: D3F300B8 0EE3152E
	v_mfma_f32_16x16x32_fp8_fp8 v[188:191], a[44:45], v[152:153], v[188:191]// 000000007BD0: D3F300BC 0EF3312C
	v_mfma_f32_16x16x32_fp8_fp8 v[188:191], a[46:47], v[154:155], v[188:191]// 000000007BD8: D3F300BC 0EF3352E
	s_waitcnt vmcnt(28)                                        // 000000007BE0: BF8C4F7C
	v_mfma_f32_16x16x32_fp8_fp8 v[160:163], a[48:49], v[140:141], v[160:163]// 000000007BE4: D3F300A0 0E831930
	buffer_load_dwordx4 a[112:115], v36, s[12:15], 0 offen     // 000000007BEC: E05C1000 80837024
	v_mfma_f32_16x16x32_fp8_fp8 v[160:163], a[50:51], v[142:143], v[160:163]// 000000007BF4: D3F300A0 0E831D32
	v_mfma_f32_16x16x32_fp8_fp8 v[164:167], a[48:49], v[156:157], v[164:167]// 000000007BFC: D3F300A4 0E933930
	buffer_load_dword v12, v5, s[16:19], 0 offen               // 000000007C04: E0501000 80040C05
	v_mfma_f32_16x16x32_fp8_fp8 v[164:167], a[50:51], v[158:159], v[164:167]// 000000007C0C: D3F300A4 0E933D32
	v_mfma_f32_16x16x32_fp8_fp8 v[168:171], a[52:53], v[140:141], v[168:171]// 000000007C14: D3F300A8 0EA31934
	buffer_load_dwordx4 a[116:119], v37, s[12:15], 0 offen     // 000000007C1C: E05C1000 80837425
	v_mfma_f32_16x16x32_fp8_fp8 v[168:171], a[54:55], v[142:143], v[168:171]// 000000007C24: D3F300A8 0EA31D36
	v_mfma_f32_16x16x32_fp8_fp8 v[172:175], a[52:53], v[156:157], v[172:175]// 000000007C2C: D3F300AC 0EB33934
	v_mfma_f32_16x16x32_fp8_fp8 v[172:175], a[54:55], v[158:159], v[172:175]// 000000007C34: D3F300AC 0EB33D36
	v_mfma_f32_16x16x32_fp8_fp8 v[176:179], a[56:57], v[140:141], v[176:179]// 000000007C3C: D3F300B0 0EC31938
	buffer_load_dwordx4 a[120:123], v38, s[12:15], 0 offen     // 000000007C44: E05C1000 80837826
	v_mfma_f32_16x16x32_fp8_fp8 v[176:179], a[58:59], v[142:143], v[176:179]// 000000007C4C: D3F300B0 0EC31D3A
	v_mfma_f32_16x16x32_fp8_fp8 v[180:183], a[56:57], v[156:157], v[180:183]// 000000007C54: D3F300B4 0ED33938
	v_mfma_f32_16x16x32_fp8_fp8 v[180:183], a[58:59], v[158:159], v[180:183]// 000000007C5C: D3F300B4 0ED33D3A
	v_mfma_f32_16x16x32_fp8_fp8 v[184:187], a[60:61], v[140:141], v[184:187]// 000000007C64: D3F300B8 0EE3193C
	buffer_load_dwordx4 a[124:127], v39, s[12:15], 0 offen     // 000000007C6C: E05C1000 80837C27
	v_mfma_f32_16x16x32_fp8_fp8 v[184:187], a[62:63], v[142:143], v[184:187]// 000000007C74: D3F300B8 0EE31D3E
	v_mfma_f32_16x16x32_fp8_fp8 v[188:191], a[60:61], v[156:157], v[188:191]// 000000007C7C: D3F300BC 0EF3393C
	v_mfma_f32_16x16x32_fp8_fp8 v[188:191], a[62:63], v[158:159], v[188:191]// 000000007C84: D3F300BC 0EF33D3E
	s_add_u32 s60, 0x200, s80                                  // 000000007C8C: 803C50FF 00000200
	s_cmp_lt_u32 s60, s81                                      // 000000007C94: BF0A513C
	s_cselect_b32 s56, s56, 0                                  // 000000007C98: 85388038
	s_cselect_b32 s78, s78, 0                                  // 000000007C9C: 854E804E
	s_cselect_b32 s79, s79, 0                                  // 000000007CA0: 854F804F
	s_add_u32 s12, s56, s12                                    // 000000007CA4: 800C0C38
	s_addc_u32 s13, 0, s13                                     // 000000007CA8: 820D0D80
	s_add_u32 s16, s79, s16                                    // 000000007CAC: 8010104F
	s_addc_u32 s17, 0, s17                                     // 000000007CB0: 82111180
	v_mul_f32_e32 v160, v22, v160                              // 000000007CB4: 0B414116
	v_mul_f32_e32 v161, v22, v161                              // 000000007CB8: 0B434316
	v_mul_f32_e32 v162, v22, v162                              // 000000007CBC: 0B454516
	v_mul_f32_e32 v163, v22, v163                              // 000000007CC0: 0B474716
	v_mul_f32_dpp v160, v11, v160 row_newbcast:0 row_mask:0xf bank_mask:0xf// 000000007CC4: 0B4140FA FF01500B
	v_mul_f32_dpp v161, v11, v161 row_newbcast:1 row_mask:0xf bank_mask:0xf// 000000007CCC: 0B4342FA FF01510B
	v_mul_f32_dpp v162, v11, v162 row_newbcast:2 row_mask:0xf bank_mask:0xf// 000000007CD4: 0B4544FA FF01520B
	v_mul_f32_dpp v163, v11, v163 row_newbcast:3 row_mask:0xf bank_mask:0xf// 000000007CDC: 0B4746FA FF01530B
	v_mul_f32_e32 v160, v17, v160                              // 000000007CE4: 0B414111
	v_mul_f32_e32 v161, v17, v161                              // 000000007CE8: 0B434311
	v_mul_f32_e32 v162, v17, v162                              // 000000007CEC: 0B454511
	v_mul_f32_e32 v163, v17, v163                              // 000000007CF0: 0B474711
	v_mul_f32_e32 v164, v23, v164                              // 000000007CF4: 0B494917
	v_mul_f32_e32 v165, v23, v165                              // 000000007CF8: 0B4B4B17
	v_mul_f32_e32 v166, v23, v166                              // 000000007CFC: 0B4D4D17
	v_mul_f32_e32 v167, v23, v167                              // 000000007D00: 0B4F4F17
	v_mul_f32_dpp v164, v11, v164 row_newbcast:0 row_mask:0xf bank_mask:0xf// 000000007D04: 0B4948FA FF01500B
	v_mul_f32_dpp v165, v11, v165 row_newbcast:1 row_mask:0xf bank_mask:0xf// 000000007D0C: 0B4B4AFA FF01510B
	v_mul_f32_dpp v166, v11, v166 row_newbcast:2 row_mask:0xf bank_mask:0xf// 000000007D14: 0B4D4CFA FF01520B
	v_mul_f32_dpp v167, v11, v167 row_newbcast:3 row_mask:0xf bank_mask:0xf// 000000007D1C: 0B4F4EFA FF01530B
	v_mul_f32_e32 v164, v18, v164                              // 000000007D24: 0B494912
	v_mul_f32_e32 v165, v18, v165                              // 000000007D28: 0B4B4B12
	v_mul_f32_e32 v166, v18, v166                              // 000000007D2C: 0B4D4D12
	v_mul_f32_e32 v167, v18, v167                              // 000000007D30: 0B4F4F12
	v_mul_f32_e32 v168, v22, v168                              // 000000007D34: 0B515116
	v_mul_f32_e32 v169, v22, v169                              // 000000007D38: 0B535316
	v_mul_f32_e32 v170, v22, v170                              // 000000007D3C: 0B555516
	v_mul_f32_e32 v171, v22, v171                              // 000000007D40: 0B575716
	v_mul_f32_dpp v168, v11, v168 row_newbcast:4 row_mask:0xf bank_mask:0xf// 000000007D44: 0B5150FA FF01540B
	v_mul_f32_dpp v169, v11, v169 row_newbcast:5 row_mask:0xf bank_mask:0xf// 000000007D4C: 0B5352FA FF01550B
	v_mul_f32_dpp v170, v11, v170 row_newbcast:6 row_mask:0xf bank_mask:0xf// 000000007D54: 0B5554FA FF01560B
	v_mul_f32_dpp v171, v11, v171 row_newbcast:7 row_mask:0xf bank_mask:0xf// 000000007D5C: 0B5756FA FF01570B
	v_mul_f32_e32 v168, v17, v168                              // 000000007D64: 0B515111
	v_mul_f32_e32 v169, v17, v169                              // 000000007D68: 0B535311
	v_mul_f32_e32 v170, v17, v170                              // 000000007D6C: 0B555511
	v_mul_f32_e32 v171, v17, v171                              // 000000007D70: 0B575711
	v_mul_f32_e32 v172, v23, v172                              // 000000007D74: 0B595917
	v_mul_f32_e32 v173, v23, v173                              // 000000007D78: 0B5B5B17
	v_mul_f32_e32 v174, v23, v174                              // 000000007D7C: 0B5D5D17
	v_mul_f32_e32 v175, v23, v175                              // 000000007D80: 0B5F5F17
	v_mul_f32_dpp v172, v11, v172 row_newbcast:4 row_mask:0xf bank_mask:0xf// 000000007D84: 0B5958FA FF01540B
	v_mul_f32_dpp v173, v11, v173 row_newbcast:5 row_mask:0xf bank_mask:0xf// 000000007D8C: 0B5B5AFA FF01550B
	v_mul_f32_dpp v174, v11, v174 row_newbcast:6 row_mask:0xf bank_mask:0xf// 000000007D94: 0B5D5CFA FF01560B
	v_mul_f32_dpp v175, v11, v175 row_newbcast:7 row_mask:0xf bank_mask:0xf// 000000007D9C: 0B5F5EFA FF01570B
	v_mul_f32_e32 v172, v18, v172                              // 000000007DA4: 0B595912
	v_mul_f32_e32 v173, v18, v173                              // 000000007DA8: 0B5B5B12
	v_mul_f32_e32 v174, v18, v174                              // 000000007DAC: 0B5D5D12
	v_mul_f32_e32 v175, v18, v175                              // 000000007DB0: 0B5F5F12
	v_mul_f32_e32 v176, v22, v176                              // 000000007DB4: 0B616116
	v_mul_f32_e32 v177, v22, v177                              // 000000007DB8: 0B636316
	v_mul_f32_e32 v178, v22, v178                              // 000000007DBC: 0B656516
	v_mul_f32_e32 v179, v22, v179                              // 000000007DC0: 0B676716
	v_mul_f32_dpp v176, v11, v176 row_newbcast:8 row_mask:0xf bank_mask:0xf// 000000007DC4: 0B6160FA FF01580B
	v_mul_f32_dpp v177, v11, v177 row_newbcast:9 row_mask:0xf bank_mask:0xf// 000000007DCC: 0B6362FA FF01590B
	v_mul_f32_dpp v178, v11, v178 row_newbcast:10 row_mask:0xf bank_mask:0xf// 000000007DD4: 0B6564FA FF015A0B
	v_mul_f32_dpp v179, v11, v179 row_newbcast:11 row_mask:0xf bank_mask:0xf// 000000007DDC: 0B6766FA FF015B0B
	v_mul_f32_e32 v176, v17, v176                              // 000000007DE4: 0B616111
	v_mul_f32_e32 v177, v17, v177                              // 000000007DE8: 0B636311
	v_mul_f32_e32 v178, v17, v178                              // 000000007DEC: 0B656511
	v_mul_f32_e32 v179, v17, v179                              // 000000007DF0: 0B676711
	v_mul_f32_e32 v180, v23, v180                              // 000000007DF4: 0B696917
	v_mul_f32_e32 v181, v23, v181                              // 000000007DF8: 0B6B6B17
	v_mul_f32_e32 v182, v23, v182                              // 000000007DFC: 0B6D6D17
	v_mul_f32_e32 v183, v23, v183                              // 000000007E00: 0B6F6F17
	v_mul_f32_dpp v180, v11, v180 row_newbcast:8 row_mask:0xf bank_mask:0xf// 000000007E04: 0B6968FA FF01580B
	v_mul_f32_dpp v181, v11, v181 row_newbcast:9 row_mask:0xf bank_mask:0xf// 000000007E0C: 0B6B6AFA FF01590B
	v_mul_f32_dpp v182, v11, v182 row_newbcast:10 row_mask:0xf bank_mask:0xf// 000000007E14: 0B6D6CFA FF015A0B
	v_mul_f32_dpp v183, v11, v183 row_newbcast:11 row_mask:0xf bank_mask:0xf// 000000007E1C: 0B6F6EFA FF015B0B
	v_mul_f32_e32 v180, v18, v180                              // 000000007E24: 0B696912
	v_mul_f32_e32 v181, v18, v181                              // 000000007E28: 0B6B6B12
	v_mul_f32_e32 v182, v18, v182                              // 000000007E2C: 0B6D6D12
	v_mul_f32_e32 v183, v18, v183                              // 000000007E30: 0B6F6F12
	v_mul_f32_e32 v184, v22, v184                              // 000000007E34: 0B717116
	v_mul_f32_e32 v185, v22, v185                              // 000000007E38: 0B737316
	v_mul_f32_e32 v186, v22, v186                              // 000000007E3C: 0B757516
	v_mul_f32_e32 v187, v22, v187                              // 000000007E40: 0B777716
	v_mul_f32_dpp v184, v11, v184 row_newbcast:12 row_mask:0xf bank_mask:0xf// 000000007E44: 0B7170FA FF015C0B
	v_mul_f32_dpp v185, v11, v185 row_newbcast:13 row_mask:0xf bank_mask:0xf// 000000007E4C: 0B7372FA FF015D0B
	v_mul_f32_dpp v186, v11, v186 row_newbcast:14 row_mask:0xf bank_mask:0xf// 000000007E54: 0B7574FA FF015E0B
	v_mul_f32_dpp v187, v11, v187 row_newbcast:15 row_mask:0xf bank_mask:0xf// 000000007E5C: 0B7776FA FF015F0B
	v_mul_f32_e32 v184, v17, v184                              // 000000007E64: 0B717111
	v_mul_f32_e32 v185, v17, v185                              // 000000007E68: 0B737311
	v_mul_f32_e32 v186, v17, v186                              // 000000007E6C: 0B757511
	v_mul_f32_e32 v187, v17, v187                              // 000000007E70: 0B777711
	v_mul_f32_e32 v188, v23, v188                              // 000000007E74: 0B797917
	v_mul_f32_e32 v189, v23, v189                              // 000000007E78: 0B7B7B17
	v_mul_f32_e32 v190, v23, v190                              // 000000007E7C: 0B7D7D17
	v_mul_f32_e32 v191, v23, v191                              // 000000007E80: 0B7F7F17
	v_mul_f32_dpp v188, v11, v188 row_newbcast:12 row_mask:0xf bank_mask:0xf// 000000007E84: 0B7978FA FF015C0B
	v_mul_f32_dpp v189, v11, v189 row_newbcast:13 row_mask:0xf bank_mask:0xf// 000000007E8C: 0B7B7AFA FF015D0B
	v_mul_f32_dpp v190, v11, v190 row_newbcast:14 row_mask:0xf bank_mask:0xf// 000000007E94: 0B7D7CFA FF015E0B
	v_mul_f32_dpp v191, v11, v191 row_newbcast:15 row_mask:0xf bank_mask:0xf// 000000007E9C: 0B7F7EFA FF015F0B
	v_mul_f32_e32 v188, v18, v188                              // 000000007EA4: 0B797912
	v_mul_f32_e32 v189, v18, v189                              // 000000007EA8: 0B7B7B12
	v_mul_f32_e32 v190, v18, v190                              // 000000007EAC: 0B7D7D12
	v_mul_f32_e32 v191, v18, v191                              // 000000007EB0: 0B7F7F12
	v_cvt_pkrtz_f16_f32 v160, v160, v161                       // 000000007EB4: D29600A0 000343A0
	v_cvt_pkrtz_f16_f32 v161, v162, v163                       // 000000007EBC: D29600A1 000347A2
	v_cvt_pkrtz_f16_f32 v162, v164, v165                       // 000000007EC4: D29600A2 00034BA4
	v_cvt_pkrtz_f16_f32 v163, v166, v167                       // 000000007ECC: D29600A3 00034FA6
	v_cvt_pkrtz_f16_f32 v164, v168, v169                       // 000000007ED4: D29600A4 000353A8
	v_cvt_pkrtz_f16_f32 v165, v170, v171                       // 000000007EDC: D29600A5 000357AA
	v_cvt_pkrtz_f16_f32 v166, v172, v173                       // 000000007EE4: D29600A6 00035BAC
	v_cvt_pkrtz_f16_f32 v167, v174, v175                       // 000000007EEC: D29600A7 00035FAE
	v_cvt_pkrtz_f16_f32 v168, v176, v177                       // 000000007EF4: D29600A8 000363B0
	v_cvt_pkrtz_f16_f32 v169, v178, v179                       // 000000007EFC: D29600A9 000367B2
	v_cvt_pkrtz_f16_f32 v170, v180, v181                       // 000000007F04: D29600AA 00036BB4
	v_cvt_pkrtz_f16_f32 v171, v182, v183                       // 000000007F0C: D29600AB 00036FB6
	v_cvt_pkrtz_f16_f32 v172, v184, v185                       // 000000007F14: D29600AC 000373B8
	v_cvt_pkrtz_f16_f32 v173, v186, v187                       // 000000007F1C: D29600AD 000377BA
	v_cvt_pkrtz_f16_f32 v174, v188, v189                       // 000000007F24: D29600AE 00037BBC
	v_cvt_pkrtz_f16_f32 v175, v190, v191                       // 000000007F2C: D29600AF 00037FBE
	ds_write_b64 v3, v[160:161] offset:26880                   // 000000007F34: D89A6900 0000A003
	ds_write_b64 v3, v[162:163] offset:35584                   // 000000007F3C: D89A8B00 0000A203
	ds_write_b64 v3, v[164:165] offset:29056                   // 000000007F44: D89A7180 0000A403
	ds_write_b64 v3, v[166:167] offset:37760                   // 000000007F4C: D89A9380 0000A603
	ds_write_b64 v3, v[168:169] offset:31232                   // 000000007F54: D89A7A00 0000A803
	ds_write_b64 v3, v[170:171] offset:39936                   // 000000007F5C: D89A9C00 0000AA03
	ds_write_b64 v3, v[172:173] offset:33408                   // 000000007F64: D89A8280 0000AC03
	ds_write_b64 v3, v[174:175] offset:42112                   // 000000007F6C: D89AA480 0000AE03
	s_waitcnt lgkmcnt(0)                                       // 000000007F74: BF8CC07F
	s_barrier                                                  // 000000007F78: BF8A0000
	ds_read_b32 v64, v4 offset:26880                           // 000000007F7C: D86C6900 40000004
	ds_read_b32 v65, v4 offset:31232                           // 000000007F84: D86C7A00 41000004
	ds_read_b32 v66, v4 offset:26912                           // 000000007F8C: D86C6920 42000004
	ds_read_b32 v67, v4 offset:31264                           // 000000007F94: D86C7A20 43000004
	ds_read_b32 v68, v4 offset:26944                           // 000000007F9C: D86C6940 44000004
	ds_read_b32 v69, v4 offset:31296                           // 000000007FA4: D86C7A40 45000004
	ds_read_b32 v70, v4 offset:26976                           // 000000007FAC: D86C6960 46000004
	ds_read_b32 v71, v4 offset:31328                           // 000000007FB4: D86C7A60 47000004
	ds_read_b32 v72, v4 offset:35584                           // 000000007FBC: D86C8B00 48000004
	ds_read_b32 v73, v4 offset:39936                           // 000000007FC4: D86C9C00 49000004
	ds_read_b32 v74, v4 offset:35616                           // 000000007FCC: D86C8B20 4A000004
	ds_read_b32 v75, v4 offset:39968                           // 000000007FD4: D86C9C20 4B000004
	ds_read_b32 v76, v4 offset:35648                           // 000000007FDC: D86C8B40 4C000004
	ds_read_b32 v77, v4 offset:40000                           // 000000007FE4: D86C9C40 4D000004
	ds_read_b32 v78, v4 offset:35680                           // 000000007FEC: D86C8B60 4E000004
	ds_read_b32 v79, v4 offset:40032                           // 000000007FF4: D86C9C60 4F000004
	s_waitcnt lgkmcnt(0)                                       // 000000007FFC: BF8CC07F
	s_mov_b64 exec, s[20:21]                                   // 000000008000: BEFE0114
	global_atomic_pk_add_f16 v80, v64, s[8:9]                  // 000000008004: DD388000 00084050
	s_mov_b64 exec, s[36:37]                                   // 00000000800C: BEFE0124
	s_mov_b64 exec, s[20:21]                                   // 000000008010: BEFE0114
	global_atomic_pk_add_f16 v80, v65, s[8:9] offset:256       // 000000008014: DD388100 00084150
	s_mov_b64 exec, s[36:37]                                   // 00000000801C: BEFE0124
	s_mov_b64 exec, s[22:23]                                   // 000000008020: BEFE0116
	global_atomic_pk_add_f16 v82, v66, s[8:9]                  // 000000008024: DD388000 00084252
	s_mov_b64 exec, s[36:37]                                   // 00000000802C: BEFE0124
	s_mov_b64 exec, s[22:23]                                   // 000000008030: BEFE0116
	global_atomic_pk_add_f16 v82, v67, s[8:9] offset:256       // 000000008034: DD388100 00084352
	s_mov_b64 exec, s[36:37]                                   // 00000000803C: BEFE0124
	s_mov_b64 exec, s[24:25]                                   // 000000008040: BEFE0118
	global_atomic_pk_add_f16 v84, v68, s[8:9]                  // 000000008044: DD388000 00084454
	s_mov_b64 exec, s[36:37]                                   // 00000000804C: BEFE0124
	s_mov_b64 exec, s[24:25]                                   // 000000008050: BEFE0118
	global_atomic_pk_add_f16 v84, v69, s[8:9] offset:256       // 000000008054: DD388100 00084554
	s_mov_b64 exec, s[36:37]                                   // 00000000805C: BEFE0124
	s_mov_b64 exec, s[26:27]                                   // 000000008060: BEFE011A
	global_atomic_pk_add_f16 v86, v70, s[8:9]                  // 000000008064: DD388000 00084656
	s_mov_b64 exec, s[36:37]                                   // 00000000806C: BEFE0124
	s_mov_b64 exec, s[26:27]                                   // 000000008070: BEFE011A
	global_atomic_pk_add_f16 v86, v71, s[8:9] offset:256       // 000000008074: DD388100 00084756
	s_mov_b64 exec, s[36:37]                                   // 00000000807C: BEFE0124
	s_mov_b64 exec, s[28:29]                                   // 000000008080: BEFE011C
	global_atomic_pk_add_f16 v88, v72, s[8:9]                  // 000000008084: DD388000 00084858
	s_mov_b64 exec, s[36:37]                                   // 00000000808C: BEFE0124
	s_mov_b64 exec, s[28:29]                                   // 000000008090: BEFE011C
	global_atomic_pk_add_f16 v88, v73, s[8:9] offset:256       // 000000008094: DD388100 00084958
	s_mov_b64 exec, s[36:37]                                   // 00000000809C: BEFE0124
	s_mov_b64 exec, s[30:31]                                   // 0000000080A0: BEFE011E
	global_atomic_pk_add_f16 v90, v74, s[8:9]                  // 0000000080A4: DD388000 00084A5A
	s_mov_b64 exec, s[36:37]                                   // 0000000080AC: BEFE0124
	s_mov_b64 exec, s[30:31]                                   // 0000000080B0: BEFE011E
	global_atomic_pk_add_f16 v90, v75, s[8:9] offset:256       // 0000000080B4: DD388100 00084B5A
	s_mov_b64 exec, s[36:37]                                   // 0000000080BC: BEFE0124
	s_mov_b64 exec, s[32:33]                                   // 0000000080C0: BEFE0120
	global_atomic_pk_add_f16 v92, v76, s[8:9]                  // 0000000080C4: DD388000 00084C5C
	s_mov_b64 exec, s[36:37]                                   // 0000000080CC: BEFE0124
	s_mov_b64 exec, s[32:33]                                   // 0000000080D0: BEFE0120
	global_atomic_pk_add_f16 v92, v77, s[8:9] offset:256       // 0000000080D4: DD388100 00084D5C
	s_mov_b64 exec, s[36:37]                                   // 0000000080DC: BEFE0124
	s_mov_b64 exec, s[34:35]                                   // 0000000080E0: BEFE0122
	global_atomic_pk_add_f16 v94, v78, s[8:9]                  // 0000000080E4: DD388000 00084E5E
	s_mov_b64 exec, s[36:37]                                   // 0000000080EC: BEFE0124
	s_mov_b64 exec, s[34:35]                                   // 0000000080F0: BEFE0122
	global_atomic_pk_add_f16 v94, v79, s[8:9] offset:256       // 0000000080F4: DD388100 00084F5E
	s_mov_b64 exec, s[36:37]                                   // 0000000080FC: BEFE0124
	s_add_u32 s8, s59, s8                                      // 000000008100: 8008083B
	s_addc_u32 s9, 0, s9                                       // 000000008104: 82090980
	s_addk_i32 s80, 0x100                                      // 000000008108: B7500100
	s_cmp_lt_i32 s80, s81                                      // 00000000810C: BF045150
	s_cbranch_scc0 label_0C80                                  // 000000008110: BF84F7BB
	s_waitcnt vmcnt(29)                                        // 000000008114: BF8C4F7D
	s_barrier                                                  // 000000008118: BF8A0000
	v_mfma_f32_16x16x32_fp8_fp8 v[192:195], a[64:65], v[128:129], 0// 00000000811C: D3F300C0 0A030140
	buffer_load_dwordx4 a[0:3], v36, s[12:15], 0 offen         // 000000008124: E05C1000 80830024
	v_mfma_f32_16x16x32_fp8_fp8 v[192:195], a[66:67], v[130:131], v[192:195]// 00000000812C: D3F300C0 0F030542
	v_mfma_f32_16x16x32_fp8_fp8 v[196:199], a[64:65], v[144:145], 0// 000000008134: D3F300C4 0A032140
	v_mfma_f32_16x16x32_fp8_fp8 v[196:199], a[66:67], v[146:147], v[196:199]// 00000000813C: D3F300C4 0F132542
	v_mfma_f32_16x16x32_fp8_fp8 v[200:203], a[68:69], v[128:129], 0// 000000008144: D3F300C8 0A030144
	buffer_load_dwordx4 a[4:7], v37, s[12:15], 0 offen         // 00000000814C: E05C1000 80830425
	v_mfma_f32_16x16x32_fp8_fp8 v[200:203], a[70:71], v[130:131], v[200:203]// 000000008154: D3F300C8 0F230546
	v_mfma_f32_16x16x32_fp8_fp8 v[204:207], a[68:69], v[144:145], 0// 00000000815C: D3F300CC 0A032144
	v_mfma_f32_16x16x32_fp8_fp8 v[204:207], a[70:71], v[146:147], v[204:207]// 000000008164: D3F300CC 0F332546
	v_mfma_f32_16x16x32_fp8_fp8 v[208:211], a[72:73], v[128:129], 0// 00000000816C: D3F300D0 0A030148
	buffer_load_dwordx4 a[8:11], v38, s[12:15], 0 offen        // 000000008174: E05C1000 80830826
	v_mfma_f32_16x16x32_fp8_fp8 v[208:211], a[74:75], v[130:131], v[208:211]// 00000000817C: D3F300D0 0F43054A
	v_mfma_f32_16x16x32_fp8_fp8 v[212:215], a[72:73], v[144:145], 0// 000000008184: D3F300D4 0A032148
	v_mfma_f32_16x16x32_fp8_fp8 v[212:215], a[74:75], v[146:147], v[212:215]// 00000000818C: D3F300D4 0F53254A
	v_mfma_f32_16x16x32_fp8_fp8 v[216:219], a[76:77], v[128:129], 0// 000000008194: D3F300D8 0A03014C
	buffer_load_dwordx4 a[12:15], v39, s[12:15], 0 offen       // 00000000819C: E05C1000 80830C27
	s_add_u32 s12, s78, s12                                    // 0000000081A4: 800C0C4E
	s_addc_u32 s13, 0, s13                                     // 0000000081A8: 820D0D80
	v_mfma_f32_16x16x32_fp8_fp8 v[216:219], a[78:79], v[130:131], v[216:219]// 0000000081AC: D3F300D8 0F63054E
	v_mfma_f32_16x16x32_fp8_fp8 v[220:223], a[76:77], v[144:145], 0// 0000000081B4: D3F300DC 0A03214C
	v_mfma_f32_16x16x32_fp8_fp8 v[220:223], a[78:79], v[146:147], v[220:223]// 0000000081BC: D3F300DC 0F73254E
	s_waitcnt vmcnt(29)                                        // 0000000081C4: BF8C4F7D
	v_mfma_f32_16x16x32_fp8_fp8 v[192:195], a[80:81], v[132:133], v[192:195]// 0000000081C8: D3F300C0 0F030950
	buffer_load_dwordx4 a[16:19], v36, s[12:15], 0 offen       // 0000000081D0: E05C1000 80831024
	v_mfma_f32_16x16x32_fp8_fp8 v[192:195], a[82:83], v[134:135], v[192:195]// 0000000081D8: D3F300C0 0F030D52
	v_mfma_f32_16x16x32_fp8_fp8 v[196:199], a[80:81], v[148:149], v[196:199]// 0000000081E0: D3F300C4 0F132950
	v_mfma_f32_16x16x32_fp8_fp8 v[196:199], a[82:83], v[150:151], v[196:199]// 0000000081E8: D3F300C4 0F132D52
	v_mfma_f32_16x16x32_fp8_fp8 v[200:203], a[84:85], v[132:133], v[200:203]// 0000000081F0: D3F300C8 0F230954
	buffer_load_dwordx4 a[20:23], v37, s[12:15], 0 offen       // 0000000081F8: E05C1000 80831425
	v_mfma_f32_16x16x32_fp8_fp8 v[200:203], a[86:87], v[134:135], v[200:203]// 000000008200: D3F300C8 0F230D56
	v_mfma_f32_16x16x32_fp8_fp8 v[204:207], a[84:85], v[148:149], v[204:207]// 000000008208: D3F300CC 0F332954
	v_mfma_f32_16x16x32_fp8_fp8 v[204:207], a[86:87], v[150:151], v[204:207]// 000000008210: D3F300CC 0F332D56
	v_mfma_f32_16x16x32_fp8_fp8 v[208:211], a[88:89], v[132:133], v[208:211]// 000000008218: D3F300D0 0F430958
	buffer_load_dwordx4 a[24:27], v38, s[12:15], 0 offen       // 000000008220: E05C1000 80831826
	v_mfma_f32_16x16x32_fp8_fp8 v[208:211], a[90:91], v[134:135], v[208:211]// 000000008228: D3F300D0 0F430D5A
	v_mfma_f32_16x16x32_fp8_fp8 v[212:215], a[88:89], v[148:149], v[212:215]// 000000008230: D3F300D4 0F532958
	v_mfma_f32_16x16x32_fp8_fp8 v[212:215], a[90:91], v[150:151], v[212:215]// 000000008238: D3F300D4 0F532D5A
	v_mfma_f32_16x16x32_fp8_fp8 v[216:219], a[92:93], v[132:133], v[216:219]// 000000008240: D3F300D8 0F63095C
	buffer_load_dwordx4 a[28:31], v39, s[12:15], 0 offen       // 000000008248: E05C1000 80831C27
	s_add_u32 s12, s78, s12                                    // 000000008250: 800C0C4E
	s_addc_u32 s13, 0, s13                                     // 000000008254: 820D0D80
	v_mfma_f32_16x16x32_fp8_fp8 v[216:219], a[94:95], v[134:135], v[216:219]// 000000008258: D3F300D8 0F630D5E
	v_mfma_f32_16x16x32_fp8_fp8 v[220:223], a[92:93], v[148:149], v[220:223]// 000000008260: D3F300DC 0F73295C
	v_mfma_f32_16x16x32_fp8_fp8 v[220:223], a[94:95], v[150:151], v[220:223]// 000000008268: D3F300DC 0F732D5E
	s_waitcnt vmcnt(29)                                        // 000000008270: BF8C4F7D
	v_mfma_f32_16x16x32_fp8_fp8 v[192:195], a[96:97], v[136:137], v[192:195]// 000000008274: D3F300C0 0F031160
	buffer_load_dwordx4 a[32:35], v36, s[12:15], 0 offen       // 00000000827C: E05C1000 80832024
	v_mfma_f32_16x16x32_fp8_fp8 v[192:195], a[98:99], v[138:139], v[192:195]// 000000008284: D3F300C0 0F031562
	v_mfma_f32_16x16x32_fp8_fp8 v[196:199], a[96:97], v[152:153], v[196:199]// 00000000828C: D3F300C4 0F133160
	v_mfma_f32_16x16x32_fp8_fp8 v[196:199], a[98:99], v[154:155], v[196:199]// 000000008294: D3F300C4 0F133562
	v_mfma_f32_16x16x32_fp8_fp8 v[200:203], a[100:101], v[136:137], v[200:203]// 00000000829C: D3F300C8 0F231164
	buffer_load_dwordx4 a[36:39], v37, s[12:15], 0 offen       // 0000000082A4: E05C1000 80832425
	v_mfma_f32_16x16x32_fp8_fp8 v[200:203], a[102:103], v[138:139], v[200:203]// 0000000082AC: D3F300C8 0F231566
	v_mfma_f32_16x16x32_fp8_fp8 v[204:207], a[100:101], v[152:153], v[204:207]// 0000000082B4: D3F300CC 0F333164
	v_mfma_f32_16x16x32_fp8_fp8 v[204:207], a[102:103], v[154:155], v[204:207]// 0000000082BC: D3F300CC 0F333566
	v_mfma_f32_16x16x32_fp8_fp8 v[208:211], a[104:105], v[136:137], v[208:211]// 0000000082C4: D3F300D0 0F431168
	buffer_load_dwordx4 a[40:43], v38, s[12:15], 0 offen       // 0000000082CC: E05C1000 80832826
	v_mfma_f32_16x16x32_fp8_fp8 v[208:211], a[106:107], v[138:139], v[208:211]// 0000000082D4: D3F300D0 0F43156A
	v_mfma_f32_16x16x32_fp8_fp8 v[212:215], a[104:105], v[152:153], v[212:215]// 0000000082DC: D3F300D4 0F533168
	v_mfma_f32_16x16x32_fp8_fp8 v[212:215], a[106:107], v[154:155], v[212:215]// 0000000082E4: D3F300D4 0F53356A
	v_mfma_f32_16x16x32_fp8_fp8 v[216:219], a[108:109], v[136:137], v[216:219]// 0000000082EC: D3F300D8 0F63116C
	buffer_load_dwordx4 a[44:47], v39, s[12:15], 0 offen       // 0000000082F4: E05C1000 80832C27
	s_add_u32 s12, s78, s12                                    // 0000000082FC: 800C0C4E
	s_addc_u32 s13, 0, s13                                     // 000000008300: 820D0D80
	v_mfma_f32_16x16x32_fp8_fp8 v[216:219], a[110:111], v[138:139], v[216:219]// 000000008304: D3F300D8 0F63156E
	v_mfma_f32_16x16x32_fp8_fp8 v[220:223], a[108:109], v[152:153], v[220:223]// 00000000830C: D3F300DC 0F73316C
	v_mfma_f32_16x16x32_fp8_fp8 v[220:223], a[110:111], v[154:155], v[220:223]// 000000008314: D3F300DC 0F73356E
	s_waitcnt vmcnt(28)                                        // 00000000831C: BF8C4F7C
	v_mfma_f32_16x16x32_fp8_fp8 v[192:195], a[112:113], v[140:141], v[192:195]// 000000008320: D3F300C0 0F031970
	buffer_load_dwordx4 a[48:51], v36, s[12:15], 0 offen       // 000000008328: E05C1000 80833024
	v_mfma_f32_16x16x32_fp8_fp8 v[192:195], a[114:115], v[142:143], v[192:195]// 000000008330: D3F300C0 0F031D72
	v_mfma_f32_16x16x32_fp8_fp8 v[196:199], a[112:113], v[156:157], v[196:199]// 000000008338: D3F300C4 0F133970
	buffer_load_dword v11, v5, s[16:19], 0 offen               // 000000008340: E0501000 80040B05
	v_mfma_f32_16x16x32_fp8_fp8 v[196:199], a[114:115], v[158:159], v[196:199]// 000000008348: D3F300C4 0F133D72
	v_mfma_f32_16x16x32_fp8_fp8 v[200:203], a[116:117], v[140:141], v[200:203]// 000000008350: D3F300C8 0F231974
	buffer_load_dwordx4 a[52:55], v37, s[12:15], 0 offen       // 000000008358: E05C1000 80833425
	v_mfma_f32_16x16x32_fp8_fp8 v[200:203], a[118:119], v[142:143], v[200:203]// 000000008360: D3F300C8 0F231D76
	v_mfma_f32_16x16x32_fp8_fp8 v[204:207], a[116:117], v[156:157], v[204:207]// 000000008368: D3F300CC 0F333974
	v_mfma_f32_16x16x32_fp8_fp8 v[204:207], a[118:119], v[158:159], v[204:207]// 000000008370: D3F300CC 0F333D76
	v_mfma_f32_16x16x32_fp8_fp8 v[208:211], a[120:121], v[140:141], v[208:211]// 000000008378: D3F300D0 0F431978
	buffer_load_dwordx4 a[56:59], v38, s[12:15], 0 offen       // 000000008380: E05C1000 80833826
	v_mfma_f32_16x16x32_fp8_fp8 v[208:211], a[122:123], v[142:143], v[208:211]// 000000008388: D3F300D0 0F431D7A
	v_mfma_f32_16x16x32_fp8_fp8 v[212:215], a[120:121], v[156:157], v[212:215]// 000000008390: D3F300D4 0F533978
	v_mfma_f32_16x16x32_fp8_fp8 v[212:215], a[122:123], v[158:159], v[212:215]// 000000008398: D3F300D4 0F533D7A
	v_mfma_f32_16x16x32_fp8_fp8 v[216:219], a[124:125], v[140:141], v[216:219]// 0000000083A0: D3F300D8 0F63197C
	buffer_load_dwordx4 a[60:63], v39, s[12:15], 0 offen       // 0000000083A8: E05C1000 80833C27
	v_mfma_f32_16x16x32_fp8_fp8 v[216:219], a[126:127], v[142:143], v[216:219]// 0000000083B0: D3F300D8 0F631D7E
	v_mfma_f32_16x16x32_fp8_fp8 v[220:223], a[124:125], v[156:157], v[220:223]// 0000000083B8: D3F300DC 0F73397C
	v_mfma_f32_16x16x32_fp8_fp8 v[220:223], a[126:127], v[158:159], v[220:223]// 0000000083C0: D3F300DC 0F733D7E
	s_add_u32 s60, 0x200, s80                                  // 0000000083C8: 803C50FF 00000200
	s_cmp_lt_u32 s60, s81                                      // 0000000083D0: BF0A513C
	s_cselect_b32 s56, s56, 0                                  // 0000000083D4: 85388038
	s_cselect_b32 s78, s78, 0                                  // 0000000083D8: 854E804E
	s_cselect_b32 s79, s79, 0                                  // 0000000083DC: 854F804F
	s_add_u32 s12, s56, s12                                    // 0000000083E0: 800C0C38
	s_addc_u32 s13, 0, s13                                     // 0000000083E4: 820D0D80
	s_add_u32 s16, s79, s16                                    // 0000000083E8: 8010104F
	s_addc_u32 s17, 0, s17                                     // 0000000083EC: 82111180
	v_mul_f32_e32 v192, v22, v192                              // 0000000083F0: 0B818116
	v_mul_f32_e32 v193, v22, v193                              // 0000000083F4: 0B838316
	v_mul_f32_e32 v194, v22, v194                              // 0000000083F8: 0B858516
	v_mul_f32_e32 v195, v22, v195                              // 0000000083FC: 0B878716
	v_mul_f32_dpp v192, v12, v192 row_newbcast:0 row_mask:0xf bank_mask:0xf// 000000008400: 0B8180FA FF01500C
	v_mul_f32_dpp v193, v12, v193 row_newbcast:1 row_mask:0xf bank_mask:0xf// 000000008408: 0B8382FA FF01510C
	v_mul_f32_dpp v194, v12, v194 row_newbcast:2 row_mask:0xf bank_mask:0xf// 000000008410: 0B8584FA FF01520C
	v_mul_f32_dpp v195, v12, v195 row_newbcast:3 row_mask:0xf bank_mask:0xf// 000000008418: 0B8786FA FF01530C
	v_mul_f32_e32 v192, v17, v192                              // 000000008420: 0B818111
	v_mul_f32_e32 v193, v17, v193                              // 000000008424: 0B838311
	v_mul_f32_e32 v194, v17, v194                              // 000000008428: 0B858511
	v_mul_f32_e32 v195, v17, v195                              // 00000000842C: 0B878711
	v_mul_f32_e32 v196, v23, v196                              // 000000008430: 0B898917
	v_mul_f32_e32 v197, v23, v197                              // 000000008434: 0B8B8B17
	v_mul_f32_e32 v198, v23, v198                              // 000000008438: 0B8D8D17
	v_mul_f32_e32 v199, v23, v199                              // 00000000843C: 0B8F8F17
	v_mul_f32_dpp v196, v12, v196 row_newbcast:0 row_mask:0xf bank_mask:0xf// 000000008440: 0B8988FA FF01500C
	v_mul_f32_dpp v197, v12, v197 row_newbcast:1 row_mask:0xf bank_mask:0xf// 000000008448: 0B8B8AFA FF01510C
	v_mul_f32_dpp v198, v12, v198 row_newbcast:2 row_mask:0xf bank_mask:0xf// 000000008450: 0B8D8CFA FF01520C
	v_mul_f32_dpp v199, v12, v199 row_newbcast:3 row_mask:0xf bank_mask:0xf// 000000008458: 0B8F8EFA FF01530C
	v_mul_f32_e32 v196, v18, v196                              // 000000008460: 0B898912
	v_mul_f32_e32 v197, v18, v197                              // 000000008464: 0B8B8B12
	v_mul_f32_e32 v198, v18, v198                              // 000000008468: 0B8D8D12
	v_mul_f32_e32 v199, v18, v199                              // 00000000846C: 0B8F8F12
	v_mul_f32_e32 v200, v22, v200                              // 000000008470: 0B919116
	v_mul_f32_e32 v201, v22, v201                              // 000000008474: 0B939316
	v_mul_f32_e32 v202, v22, v202                              // 000000008478: 0B959516
	v_mul_f32_e32 v203, v22, v203                              // 00000000847C: 0B979716
	v_mul_f32_dpp v200, v12, v200 row_newbcast:4 row_mask:0xf bank_mask:0xf// 000000008480: 0B9190FA FF01540C
	v_mul_f32_dpp v201, v12, v201 row_newbcast:5 row_mask:0xf bank_mask:0xf// 000000008488: 0B9392FA FF01550C
	v_mul_f32_dpp v202, v12, v202 row_newbcast:6 row_mask:0xf bank_mask:0xf// 000000008490: 0B9594FA FF01560C
	v_mul_f32_dpp v203, v12, v203 row_newbcast:7 row_mask:0xf bank_mask:0xf// 000000008498: 0B9796FA FF01570C
	v_mul_f32_e32 v200, v17, v200                              // 0000000084A0: 0B919111
	v_mul_f32_e32 v201, v17, v201                              // 0000000084A4: 0B939311
	v_mul_f32_e32 v202, v17, v202                              // 0000000084A8: 0B959511
	v_mul_f32_e32 v203, v17, v203                              // 0000000084AC: 0B979711
	v_mul_f32_e32 v204, v23, v204                              // 0000000084B0: 0B999917
	v_mul_f32_e32 v205, v23, v205                              // 0000000084B4: 0B9B9B17
	v_mul_f32_e32 v206, v23, v206                              // 0000000084B8: 0B9D9D17
	v_mul_f32_e32 v207, v23, v207                              // 0000000084BC: 0B9F9F17
	v_mul_f32_dpp v204, v12, v204 row_newbcast:4 row_mask:0xf bank_mask:0xf// 0000000084C0: 0B9998FA FF01540C
	v_mul_f32_dpp v205, v12, v205 row_newbcast:5 row_mask:0xf bank_mask:0xf// 0000000084C8: 0B9B9AFA FF01550C
	v_mul_f32_dpp v206, v12, v206 row_newbcast:6 row_mask:0xf bank_mask:0xf// 0000000084D0: 0B9D9CFA FF01560C
	v_mul_f32_dpp v207, v12, v207 row_newbcast:7 row_mask:0xf bank_mask:0xf// 0000000084D8: 0B9F9EFA FF01570C
	v_mul_f32_e32 v204, v18, v204                              // 0000000084E0: 0B999912
	v_mul_f32_e32 v205, v18, v205                              // 0000000084E4: 0B9B9B12
	v_mul_f32_e32 v206, v18, v206                              // 0000000084E8: 0B9D9D12
	v_mul_f32_e32 v207, v18, v207                              // 0000000084EC: 0B9F9F12
	v_mul_f32_e32 v208, v22, v208                              // 0000000084F0: 0BA1A116
	v_mul_f32_e32 v209, v22, v209                              // 0000000084F4: 0BA3A316
	v_mul_f32_e32 v210, v22, v210                              // 0000000084F8: 0BA5A516
	v_mul_f32_e32 v211, v22, v211                              // 0000000084FC: 0BA7A716
	v_mul_f32_dpp v208, v12, v208 row_newbcast:8 row_mask:0xf bank_mask:0xf// 000000008500: 0BA1A0FA FF01580C
	v_mul_f32_dpp v209, v12, v209 row_newbcast:9 row_mask:0xf bank_mask:0xf// 000000008508: 0BA3A2FA FF01590C
	v_mul_f32_dpp v210, v12, v210 row_newbcast:10 row_mask:0xf bank_mask:0xf// 000000008510: 0BA5A4FA FF015A0C
	v_mul_f32_dpp v211, v12, v211 row_newbcast:11 row_mask:0xf bank_mask:0xf// 000000008518: 0BA7A6FA FF015B0C
	v_mul_f32_e32 v208, v17, v208                              // 000000008520: 0BA1A111
	v_mul_f32_e32 v209, v17, v209                              // 000000008524: 0BA3A311
	v_mul_f32_e32 v210, v17, v210                              // 000000008528: 0BA5A511
	v_mul_f32_e32 v211, v17, v211                              // 00000000852C: 0BA7A711
	v_mul_f32_e32 v212, v23, v212                              // 000000008530: 0BA9A917
	v_mul_f32_e32 v213, v23, v213                              // 000000008534: 0BABAB17
	v_mul_f32_e32 v214, v23, v214                              // 000000008538: 0BADAD17
	v_mul_f32_e32 v215, v23, v215                              // 00000000853C: 0BAFAF17
	v_mul_f32_dpp v212, v12, v212 row_newbcast:8 row_mask:0xf bank_mask:0xf// 000000008540: 0BA9A8FA FF01580C
	v_mul_f32_dpp v213, v12, v213 row_newbcast:9 row_mask:0xf bank_mask:0xf// 000000008548: 0BABAAFA FF01590C
	v_mul_f32_dpp v214, v12, v214 row_newbcast:10 row_mask:0xf bank_mask:0xf// 000000008550: 0BADACFA FF015A0C
	v_mul_f32_dpp v215, v12, v215 row_newbcast:11 row_mask:0xf bank_mask:0xf// 000000008558: 0BAFAEFA FF015B0C
	v_mul_f32_e32 v212, v18, v212                              // 000000008560: 0BA9A912
	v_mul_f32_e32 v213, v18, v213                              // 000000008564: 0BABAB12
	v_mul_f32_e32 v214, v18, v214                              // 000000008568: 0BADAD12
	v_mul_f32_e32 v215, v18, v215                              // 00000000856C: 0BAFAF12
	v_mul_f32_e32 v216, v22, v216                              // 000000008570: 0BB1B116
	v_mul_f32_e32 v217, v22, v217                              // 000000008574: 0BB3B316
	v_mul_f32_e32 v218, v22, v218                              // 000000008578: 0BB5B516
	v_mul_f32_e32 v219, v22, v219                              // 00000000857C: 0BB7B716
	v_mul_f32_dpp v216, v12, v216 row_newbcast:12 row_mask:0xf bank_mask:0xf// 000000008580: 0BB1B0FA FF015C0C
	v_mul_f32_dpp v217, v12, v217 row_newbcast:13 row_mask:0xf bank_mask:0xf// 000000008588: 0BB3B2FA FF015D0C
	v_mul_f32_dpp v218, v12, v218 row_newbcast:14 row_mask:0xf bank_mask:0xf// 000000008590: 0BB5B4FA FF015E0C
	v_mul_f32_dpp v219, v12, v219 row_newbcast:15 row_mask:0xf bank_mask:0xf// 000000008598: 0BB7B6FA FF015F0C
	v_mul_f32_e32 v216, v17, v216                              // 0000000085A0: 0BB1B111
	v_mul_f32_e32 v217, v17, v217                              // 0000000085A4: 0BB3B311
	v_mul_f32_e32 v218, v17, v218                              // 0000000085A8: 0BB5B511
	v_mul_f32_e32 v219, v17, v219                              // 0000000085AC: 0BB7B711
	v_mul_f32_e32 v220, v23, v220                              // 0000000085B0: 0BB9B917
	v_mul_f32_e32 v221, v23, v221                              // 0000000085B4: 0BBBBB17
	v_mul_f32_e32 v222, v23, v222                              // 0000000085B8: 0BBDBD17
	v_mul_f32_e32 v223, v23, v223                              // 0000000085BC: 0BBFBF17
	v_mul_f32_dpp v220, v12, v220 row_newbcast:12 row_mask:0xf bank_mask:0xf// 0000000085C0: 0BB9B8FA FF015C0C
	v_mul_f32_dpp v221, v12, v221 row_newbcast:13 row_mask:0xf bank_mask:0xf// 0000000085C8: 0BBBBAFA FF015D0C
	v_mul_f32_dpp v222, v12, v222 row_newbcast:14 row_mask:0xf bank_mask:0xf// 0000000085D0: 0BBDBCFA FF015E0C
	v_mul_f32_dpp v223, v12, v223 row_newbcast:15 row_mask:0xf bank_mask:0xf// 0000000085D8: 0BBFBEFA FF015F0C
	v_mul_f32_e32 v220, v18, v220                              // 0000000085E0: 0BB9B912
	v_mul_f32_e32 v221, v18, v221                              // 0000000085E4: 0BBBBB12
	v_mul_f32_e32 v222, v18, v222                              // 0000000085E8: 0BBDBD12
	v_mul_f32_e32 v223, v18, v223                              // 0000000085EC: 0BBFBF12
	v_cvt_pkrtz_f16_f32 v192, v192, v193                       // 0000000085F0: D29600C0 000383C0
	v_cvt_pkrtz_f16_f32 v193, v194, v195                       // 0000000085F8: D29600C1 000387C2
	v_cvt_pkrtz_f16_f32 v194, v196, v197                       // 000000008600: D29600C2 00038BC4
	v_cvt_pkrtz_f16_f32 v195, v198, v199                       // 000000008608: D29600C3 00038FC6
	v_cvt_pkrtz_f16_f32 v196, v200, v201                       // 000000008610: D29600C4 000393C8
	v_cvt_pkrtz_f16_f32 v197, v202, v203                       // 000000008618: D29600C5 000397CA
	v_cvt_pkrtz_f16_f32 v198, v204, v205                       // 000000008620: D29600C6 00039BCC
	v_cvt_pkrtz_f16_f32 v199, v206, v207                       // 000000008628: D29600C7 00039FCE
	v_cvt_pkrtz_f16_f32 v200, v208, v209                       // 000000008630: D29600C8 0003A3D0
	v_cvt_pkrtz_f16_f32 v201, v210, v211                       // 000000008638: D29600C9 0003A7D2
	v_cvt_pkrtz_f16_f32 v202, v212, v213                       // 000000008640: D29600CA 0003ABD4
	v_cvt_pkrtz_f16_f32 v203, v214, v215                       // 000000008648: D29600CB 0003AFD6
	v_cvt_pkrtz_f16_f32 v204, v216, v217                       // 000000008650: D29600CC 0003B3D8
	v_cvt_pkrtz_f16_f32 v205, v218, v219                       // 000000008658: D29600CD 0003B7DA
	v_cvt_pkrtz_f16_f32 v206, v220, v221                       // 000000008660: D29600CE 0003BBDC
	v_cvt_pkrtz_f16_f32 v207, v222, v223                       // 000000008668: D29600CF 0003BFDE
	ds_write_b64 v3, v[192:193] offset:26880                   // 000000008670: D89A6900 0000C003
	ds_write_b64 v3, v[194:195] offset:35584                   // 000000008678: D89A8B00 0000C203
	ds_write_b64 v3, v[196:197] offset:29056                   // 000000008680: D89A7180 0000C403
	ds_write_b64 v3, v[198:199] offset:37760                   // 000000008688: D89A9380 0000C603
	ds_write_b64 v3, v[200:201] offset:31232                   // 000000008690: D89A7A00 0000C803
	ds_write_b64 v3, v[202:203] offset:39936                   // 000000008698: D89A9C00 0000CA03
	ds_write_b64 v3, v[204:205] offset:33408                   // 0000000086A0: D89A8280 0000CC03
	ds_write_b64 v3, v[206:207] offset:42112                   // 0000000086A8: D89AA480 0000CE03
	s_waitcnt lgkmcnt(0)                                       // 0000000086B0: BF8CC07F
	s_barrier                                                  // 0000000086B4: BF8A0000
	ds_read_b32 v64, v4 offset:26880                           // 0000000086B8: D86C6900 40000004
	ds_read_b32 v65, v4 offset:31232                           // 0000000086C0: D86C7A00 41000004
	ds_read_b32 v66, v4 offset:26912                           // 0000000086C8: D86C6920 42000004
	ds_read_b32 v67, v4 offset:31264                           // 0000000086D0: D86C7A20 43000004
	ds_read_b32 v68, v4 offset:26944                           // 0000000086D8: D86C6940 44000004
	ds_read_b32 v69, v4 offset:31296                           // 0000000086E0: D86C7A40 45000004
	ds_read_b32 v70, v4 offset:26976                           // 0000000086E8: D86C6960 46000004
	ds_read_b32 v71, v4 offset:31328                           // 0000000086F0: D86C7A60 47000004
	ds_read_b32 v72, v4 offset:35584                           // 0000000086F8: D86C8B00 48000004
	ds_read_b32 v73, v4 offset:39936                           // 000000008700: D86C9C00 49000004
	ds_read_b32 v74, v4 offset:35616                           // 000000008708: D86C8B20 4A000004
	ds_read_b32 v75, v4 offset:39968                           // 000000008710: D86C9C20 4B000004
	ds_read_b32 v76, v4 offset:35648                           // 000000008718: D86C8B40 4C000004
	ds_read_b32 v77, v4 offset:40000                           // 000000008720: D86C9C40 4D000004
	ds_read_b32 v78, v4 offset:35680                           // 000000008728: D86C8B60 4E000004
	ds_read_b32 v79, v4 offset:40032                           // 000000008730: D86C9C60 4F000004
	s_waitcnt lgkmcnt(0)                                       // 000000008738: BF8CC07F
	s_mov_b64 exec, s[20:21]                                   // 00000000873C: BEFE0114
	global_atomic_pk_add_f16 v80, v64, s[8:9]                  // 000000008740: DD388000 00084050
	s_mov_b64 exec, s[36:37]                                   // 000000008748: BEFE0124
	s_mov_b64 exec, s[20:21]                                   // 00000000874C: BEFE0114
	global_atomic_pk_add_f16 v80, v65, s[8:9] offset:256       // 000000008750: DD388100 00084150
	s_mov_b64 exec, s[36:37]                                   // 000000008758: BEFE0124
	s_mov_b64 exec, s[22:23]                                   // 00000000875C: BEFE0116
	global_atomic_pk_add_f16 v82, v66, s[8:9]                  // 000000008760: DD388000 00084252
	s_mov_b64 exec, s[36:37]                                   // 000000008768: BEFE0124
	s_mov_b64 exec, s[22:23]                                   // 00000000876C: BEFE0116
	global_atomic_pk_add_f16 v82, v67, s[8:9] offset:256       // 000000008770: DD388100 00084352
	s_mov_b64 exec, s[36:37]                                   // 000000008778: BEFE0124
	s_mov_b64 exec, s[24:25]                                   // 00000000877C: BEFE0118
	global_atomic_pk_add_f16 v84, v68, s[8:9]                  // 000000008780: DD388000 00084454
	s_mov_b64 exec, s[36:37]                                   // 000000008788: BEFE0124
	s_mov_b64 exec, s[24:25]                                   // 00000000878C: BEFE0118
	global_atomic_pk_add_f16 v84, v69, s[8:9] offset:256       // 000000008790: DD388100 00084554
	s_mov_b64 exec, s[36:37]                                   // 000000008798: BEFE0124
	s_mov_b64 exec, s[26:27]                                   // 00000000879C: BEFE011A
	global_atomic_pk_add_f16 v86, v70, s[8:9]                  // 0000000087A0: DD388000 00084656
	s_mov_b64 exec, s[36:37]                                   // 0000000087A8: BEFE0124
	s_mov_b64 exec, s[26:27]                                   // 0000000087AC: BEFE011A
	global_atomic_pk_add_f16 v86, v71, s[8:9] offset:256       // 0000000087B0: DD388100 00084756
	s_mov_b64 exec, s[36:37]                                   // 0000000087B8: BEFE0124
	s_mov_b64 exec, s[28:29]                                   // 0000000087BC: BEFE011C
	global_atomic_pk_add_f16 v88, v72, s[8:9]                  // 0000000087C0: DD388000 00084858
	s_mov_b64 exec, s[36:37]                                   // 0000000087C8: BEFE0124
	s_mov_b64 exec, s[28:29]                                   // 0000000087CC: BEFE011C
	global_atomic_pk_add_f16 v88, v73, s[8:9] offset:256       // 0000000087D0: DD388100 00084958
	s_mov_b64 exec, s[36:37]                                   // 0000000087D8: BEFE0124
	s_mov_b64 exec, s[30:31]                                   // 0000000087DC: BEFE011E
	global_atomic_pk_add_f16 v90, v74, s[8:9]                  // 0000000087E0: DD388000 00084A5A
	s_mov_b64 exec, s[36:37]                                   // 0000000087E8: BEFE0124
	s_mov_b64 exec, s[30:31]                                   // 0000000087EC: BEFE011E
	global_atomic_pk_add_f16 v90, v75, s[8:9] offset:256       // 0000000087F0: DD388100 00084B5A
	s_mov_b64 exec, s[36:37]                                   // 0000000087F8: BEFE0124
	s_mov_b64 exec, s[32:33]                                   // 0000000087FC: BEFE0120
	global_atomic_pk_add_f16 v92, v76, s[8:9]                  // 000000008800: DD388000 00084C5C
	s_mov_b64 exec, s[36:37]                                   // 000000008808: BEFE0124
	s_mov_b64 exec, s[32:33]                                   // 00000000880C: BEFE0120
	global_atomic_pk_add_f16 v92, v77, s[8:9] offset:256       // 000000008810: DD388100 00084D5C
	s_mov_b64 exec, s[36:37]                                   // 000000008818: BEFE0124
	s_mov_b64 exec, s[34:35]                                   // 00000000881C: BEFE0122
	global_atomic_pk_add_f16 v94, v78, s[8:9]                  // 000000008820: DD388000 00084E5E
	s_mov_b64 exec, s[36:37]                                   // 000000008828: BEFE0124
	s_mov_b64 exec, s[34:35]                                   // 00000000882C: BEFE0122
	global_atomic_pk_add_f16 v94, v79, s[8:9] offset:256       // 000000008830: DD388100 00084F5E
	s_mov_b64 exec, s[36:37]                                   // 000000008838: BEFE0124
	s_add_u32 s8, s59, s8                                      // 00000000883C: 8008083B
	s_addc_u32 s9, 0, s9                                       // 000000008840: 82090980
	s_addk_i32 s80, 0x100                                      // 000000008844: B7500100
	s_cmp_lt_i32 s80, s81                                      // 000000008848: BF045150
	s_cbranch_scc0 label_0C80                                  // 00000000884C: BF84F5EC
	s_branch label_12F6                                        // 000000008850: BF82FC61

0000000000008854 <label_1695>:
	s_waitcnt vmcnt(0) expcnt(0) lgkmcnt(0)                    // 000000008854: BF8C0000
	s_endpgm                                                   // 000000008858: BF810000
